;; amdgpu-corpus repo=ROCm/aiter kind=harvested arch=n/a opt=n/a

/root/src/amdgpu-assembly/repos/ROCm__aiter/hsa/gfx950/fmoe_2stages/fmoe_stage1_bf16_pertokenFp8_g1u1_16x64_5tg_pf3.co:	file format elf64-amdgpu

Disassembly of section .text:

0000000000002a00 <_ZN5aiter47fmoe_stage1_bf16_pertokenFp8_g1u1_16x64_5tg_pf3E>:
	s_and_b32 s1, s1, 0xffff                                   // 000000002A00: 8601FF01 0000FFFF
	s_load_dwordx2 s[8:9], s[0:1], 0x0                         // 000000002A08: C0060200 00000000
	s_load_dwordx2 s[20:21], s[0:1], 0x10                      // 000000002A10: C0060500 00000010
	s_load_dwordx2 s[24:25], s[0:1], 0x20                      // 000000002A18: C0060600 00000020
	s_load_dwordx2 s[48:49], s[0:1], 0x30                      // 000000002A20: C0060C00 00000030
	s_load_dwordx2 s[28:29], s[0:1], 0x40                      // 000000002A28: C0060700 00000040
	s_load_dwordx2 s[32:33], s[0:1], 0x50                      // 000000002A30: C0060800 00000050
	s_load_dwordx2 s[36:37], s[0:1], 0x60                      // 000000002A38: C0060900 00000060
	s_load_dwordx2 s[12:13], s[0:1], 0x70                      // 000000002A40: C0060300 00000070
	s_load_dwordx2 s[44:45], s[0:1], 0x80                      // 000000002A48: C0060B00 00000080
	s_mov_b32 s89, 0                                           // 000000002A50: BED90080
	s_load_dword s64, s[0:1], 0x90                             // 000000002A54: C0021000 00000090
	s_load_dword s65, s[0:1], 0xa0                             // 000000002A5C: C0021040 000000A0
	s_load_dword s66, s[0:1], 0xb0                             // 000000002A64: C0021080 000000B0
	s_load_dword s67, s[0:1], 0xc0                             // 000000002A6C: C00210C0 000000C0
	s_load_dword s68, s[0:1], 0xd0                             // 000000002A74: C0021100 000000D0
	s_load_dword s69, s[0:1], 0xe0                             // 000000002A7C: C0021140 000000E0
	s_load_dword s71, s[0:1], 0xf0                             // 000000002A84: C00211C0 000000F0
	s_load_dword s72, s[0:1], 0x100                            // 000000002A8C: C0021200 00000100
	s_load_dword s74, s[0:1], 0x110                            // 000000002A94: C0021280 00000110
	s_load_dword s76, s[0:1], 0x120                            // 000000002A9C: C0021300 00000120
	s_load_dword s56, s[0:1], 0x130                            // 000000002AA4: C0020E00 00000130
	s_load_dword s88, s[0:1], 0x140                            // 000000002AAC: C0021600 00000140
	s_load_dword s89, s[0:1], 0x150                            // 000000002AB4: C0021640 00000150
	v_lshrrev_b32_e32 v1, 10, v0                               // 000000002ABC: 2002008A
	v_lshrrev_b32_e32 v2, 10, v1                               // 000000002AC0: 2004028A
	v_and_b32_e32 v2, 0x3ff, v2                                // 000000002AC4: 260404FF 000003FF
	v_and_b32_e32 v1, 0x3ff, v1                                // 000000002ACC: 260202FF 000003FF
	v_and_b32_e32 v0, 0x3ff, v0                                // 000000002AD4: 260000FF 000003FF
	v_lshrrev_b32_e32 v3, 6, v0                                // 000000002ADC: 20060086
	v_and_b32_e32 v0, 63, v0                                   // 000000002AE0: 260000BF
	s_mov_b32 s2, s2                                           // 000000002AE4: BE820002
	s_mov_b32 s3, s3                                           // 000000002AE8: BE830003
	s_mov_b32 s4, s4                                           // 000000002AEC: BE840004
	v_readfirstlane_b32 s7, v3                                 // 000000002AF0: 7E0E0503
	s_waitcnt lgkmcnt(0)                                       // 000000002AF4: BF8CC07F
	s_and_b32 s49, s49, 0xffff                                 // 000000002AF8: 8631FF31 0000FFFF
	s_load_dword s48, s[48:49], 0x0                            // 000000002B00: C0020C18 00000000
	s_and_b32 s45, s45, 0xffff                                 // 000000002B08: 862DFF2D 0000FFFF
	s_and_b32 s9, s9, 0xffff                                   // 000000002B10: 8609FF09 0000FFFF
	s_mul_i32 s60, s66, s68                                    // 000000002B18: 923C4442
	s_mul_i32 s61, s66, 4                                      // 000000002B1C: 923D8442
	s_mov_b32 s22, s60                                         // 000000002B20: BE96003C
	s_mov_b32 s26, -16                                         // 000000002B24: BE9A00D0
	s_mov_b32 s30, s61                                         // 000000002B28: BE9E003D
	s_mov_b32 s14, 64                                          // 000000002B2C: BE8E00C0
	s_mov_b32 s38, -16                                         // 000000002B30: BEA600D0
	s_mov_b32 s10, -16                                         // 000000002B34: BE8A00D0
	s_mov_b32 s34, 0x100                                       // 000000002B38: BEA200FF 00000100
	s_mov_b32 s23, 0x20000                                     // 000000002B40: BE9700FF 00020000
	s_mov_b32 s27, 0x20000                                     // 000000002B48: BE9B00FF 00020000
	s_mov_b32 s31, 0x20000                                     // 000000002B50: BE9F00FF 00020000
	s_mov_b32 s35, 0x20000                                     // 000000002B58: BEA300FF 00020000
	s_mov_b32 s15, 0x20000                                     // 000000002B60: BE8F00FF 00020000
	s_mov_b32 s39, 0x20000                                     // 000000002B68: BEA700FF 00020000
	s_mov_b32 s11, 0x20000                                     // 000000002B70: BE8B00FF 00020000
	s_and_b32 s21, s21, 0xffff                                 // 000000002B78: 8615FF15 0000FFFF
	s_and_b32 s25, s25, 0xffff                                 // 000000002B80: 8619FF19 0000FFFF
	s_and_b32 s29, s29, 0xffff                                 // 000000002B88: 861DFF1D 0000FFFF
	s_and_b32 s33, s33, 0xffff                                 // 000000002B90: 8621FF21 0000FFFF
	s_and_b32 s13, s13, 0xffff                                 // 000000002B98: 860DFF0D 0000FFFF
	s_and_b32 s37, s37, 0xffff                                 // 000000002BA0: 8625FF25 0000FFFF
	s_or_b32 s21, s21, 0x40000                                 // 000000002BA8: 8715FF15 00040000
	s_or_b32 s25, s25, 0x40000                                 // 000000002BB0: 8719FF19 00040000
	s_or_b32 s29, s29, 0x40000                                 // 000000002BB8: 871DFF1D 00040000
	s_or_b32 s33, s33, 0x40000                                 // 000000002BC0: 8721FF21 00040000
	s_or_b32 s13, s13, 0x40000                                 // 000000002BC8: 870DFF0D 00040000
	s_or_b32 s37, s37, 0x40000                                 // 000000002BD0: 8725FF25 00040000
	v_accvgpr_write_b32 a39, 0                                 // 000000002BD8: D3D94027 18000080
	v_mov_b32_e32 v47, 0                                       // 000000002BE0: 7E5E0280
	s_waitcnt lgkmcnt(0)                                       // 000000002BE4: BF8CC07F
	s_mul_i32 s60, s3, 16                                      // 000000002BE8: 923C9003
	s_cmp_lt_i32 s60, s48                                      // 000000002BEC: BF04303C
	s_cbranch_scc0 label_0824                                  // 000000002BF0: BF8407A4
	s_mov_b32 s80, 0                                           // 000000002BF4: BED00080
	s_lshr_b32 s81, s64, s88                                   // 000000002BF8: 8F515840
	s_mul_i32 s60, s3, 4                                       // 000000002BFC: 923C8403
	s_add_u32 s44, s60, s44                                    // 000000002C00: 802C2C3C
	s_addc_u32 s45, 0, s45                                     // 000000002C04: 822D2D80
	s_load_dword s5, s[44:45], 0x0                             // 000000002C08: C0020156 00000000
	s_mul_i32 s60, s3, 16                                      // 000000002C10: 923C9003
	s_mul_i32 s60, 4, s60                                      // 000000002C14: 923C3C84
	s_add_u32 s12, s60, s12                                    // 000000002C18: 800C0C3C
	s_addc_u32 s13, 0, s13                                     // 000000002C1C: 820D0D80
	v_and_b32_e32 v4, 15, v0                                   // 000000002C20: 2608008F
	v_lshlrev_b32_e32 v4, 2, v4                                // 000000002C24: 24080882
	buffer_load_dword v30, v4, s[12:15], 0 offen               // 000000002C28: E0501000 80031E04
	v_add_u32_e32 v4, 64, v4                                   // 000000002C30: 680808C0
	s_mul_i32 s60, 4, s7                                       // 000000002C34: 923C0784
	v_lshlrev_b32_e32 v4, 4, v0                                // 000000002C38: 24080084
	v_add_u32_e32 v4, s60, v4                                  // 000000002C3C: 6808083C
	buffer_load_dword v3, v4, s[12:15], 0 offen                // 000000002C40: E0501000 80030304
	v_mov_b32_e32 v40, 0                                       // 000000002C48: 7E500280
	v_mov_b32_e32 v44, 0                                       // 000000002C4C: 7E580280
	v_mov_b32_e32 v41, 0                                       // 000000002C50: 7E520280
	v_mov_b32_e32 v45, 0                                       // 000000002C54: 7E5A0280
	v_mov_b32_e32 v42, 0                                       // 000000002C58: 7E540280
	v_mov_b32_e32 v46, 0                                       // 000000002C5C: 7E5C0280
	v_mov_b32_e32 v43, 0                                       // 000000002C60: 7E560280
	v_mov_b32_e32 v47, 0                                       // 000000002C64: 7E5E0280
	s_mul_i32 s60, s2, 0x80                                    // 000000002C68: 923CFF02 00000080
	s_cmp_eq_u32 s88, 0                                        // 000000002C70: BF068058
	s_cselect_b32 s61, 1, 2                                    // 000000002C74: 853D8281
	s_mul_i32 s60, s60, s61                                    // 000000002C78: 923C3D3C
	s_mov_b32 s90, s8                                          // 000000002C7C: BEDA0008
	s_mov_b32 s91, s9                                          // 000000002C80: BEDB0009
	s_add_u32 s8, s60, s8                                      // 000000002C84: 8008083C
	s_addc_u32 s9, 0, s9                                       // 000000002C88: 82090980
	v_lshrrev_b32_e32 v4, 4, v0                                // 000000002C8C: 20080084
	v_mul_lo_u32 v20, 34, v4                                   // 000000002C90: D2850014 000208A2
	v_and_b32_e32 v4, 15, v0                                   // 000000002C98: 2608008F
	v_mul_lo_u32 v5, 2, v4                                     // 000000002C9C: D2850005 00020882
	v_add_u32_e32 v20, v5, v20                                 // 000000002CA4: 68282905
	s_mul_i32 s60, s7, 0x88                                    // 000000002CA8: 923CFF07 00000088
	v_add_u32_e32 v20, s60, v20                                // 000000002CB0: 6828283C
	v_lshlrev_b32_e32 v20, 2, v20                              // 000000002CB4: 24282882
	v_and_b32_e32 v4, 31, v0                                   // 000000002CB8: 2608009F
	v_lshrrev_b32_e32 v4, 1, v4                                // 000000002CBC: 20080881
	v_mul_lo_u32 v21, 34, v4                                   // 000000002CC0: D2850015 000208A2
	v_lshrrev_b32_e32 v4, 5, v0                                // 000000002CC8: 20080085
	v_mul_lo_u32 v4, 8, v4                                     // 000000002CCC: D2850004 00020888
	v_add_u32_e32 v21, v21, v4                                 // 000000002CD4: 682A0915
	v_and_b32_e32 v5, 1, v0                                    // 000000002CD8: 260A0081
	v_add_u32_e32 v21, v5, v21                                 // 000000002CDC: 682A2B05
	s_mul_i32 s60, s7, 2                                       // 000000002CE0: 923C8207
	v_add_u32_e32 v21, s60, v21                                // 000000002CE4: 682A2A3C
	v_lshlrev_b32_e32 v21, 2, v21                              // 000000002CE8: 242A2A82
	s_mul_i32 s60, s7, 0x220                                   // 000000002CEC: 923CFF07 00000220
	s_add_u32 s48, 0, s60                                      // 000000002CF4: 80303C80
	s_add_u32 s49, 0x880, s48                                  // 000000002CF8: 803130FF 00000880
	s_add_u32 s50, 0x880, s49                                  // 000000002D00: 803231FF 00000880
	v_lshrrev_b32_e32 v4, 4, v0                                // 000000002D08: 20080084
	v_lshlrev_b32_e32 v5, 2, v4                                // 000000002D0C: 240A0882
	v_and_b32_e32 v4, 15, v0                                   // 000000002D10: 2608008F
	v_lshrrev_b32_e32 v6, 2, v4                                // 000000002D14: 200C0882
	v_lshlrev_b32_e32 v6, 5, v6                                // 000000002D18: 240C0C85
	v_add_u32_e32 v5, v6, v5                                   // 000000002D1C: 680A0B06
	v_and_b32_e32 v4, 3, v0                                    // 000000002D20: 26080083
	v_mul_u32_u24_e32 v6, 0x88, v4                             // 000000002D24: 100C08FF 00000088
	v_add_u32_e32 v5, v6, v5                                   // 000000002D2C: 680A0B06
	v_lshlrev_b32_e32 v2, 2, v5                                // 000000002D30: 24040A82
	s_waitcnt lgkmcnt(0)                                       // 000000002D34: BF8CC07F
	s_mul_i32 s60, s2, 64                                      // 000000002D38: 923CC002
	s_mul_i32 s60, s60, s69                                    // 000000002D3C: 923C453C
	s_mul_i32 s61, s5, s72                                     // 000000002D40: 923D4805
	s_add_u32 s60, s61, s60                                    // 000000002D44: 803C3C3D
	s_add_u32 s24, s60, s24                                    // 000000002D48: 8018183C
	s_addc_u32 s25, 0, s25                                     // 000000002D4C: 82191980
	s_lshr_b32 s60, s64, s88                                   // 000000002D50: 8F3C5840
	s_mul_i32 s60, s4, s60                                     // 000000002D54: 923C3C04
	s_lshr_b32 s60, s60, 7                                     // 000000002D58: 8F3C873C
	s_mul_i32 s60, s60, 0x800                                  // 000000002D5C: 923CFF3C 00000800
	s_add_u32 s24, s60, s24                                    // 000000002D64: 8018183C
	s_addc_u32 s25, 0, s25                                     // 000000002D68: 82191980
	s_lshr_b32 s60, s69, s88                                   // 000000002D6C: 8F3C5845
	s_mul_i32 s60, s4, s60                                     // 000000002D70: 923C3C04
	s_add_u32 s20, s60, s20                                    // 000000002D74: 8014143C
	s_addc_u32 s21, 0, s21                                     // 000000002D78: 82151580
	s_mul_i32 s60, s7, 16                                      // 000000002D7C: 923C9007
	s_mul_i32 s60, s60, s69                                    // 000000002D80: 923C453C
	v_lshlrev_b32_e32 v36, 4, v0                               // 000000002D84: 24480084
	v_add_u32_e32 v36, s60, v36                                // 000000002D88: 6848483C
	s_mul_i32 s60, 64, s69                                     // 000000002D8C: 923C45C0
	s_mov_b32 s84, s24                                         // 000000002D90: BED40018
	s_mov_b32 s85, s25                                         // 000000002D94: BED50019
	s_mov_b32 s86, s26                                         // 000000002D98: BED6001A
	s_mov_b32 s87, s27                                         // 000000002D9C: BED7001B
	s_mul_i32 s60, s69, s65                                    // 000000002DA0: 923C4145
	s_add_u32 s84, s60, s84                                    // 000000002DA4: 8054543C
	s_addc_u32 s85, 0, s85                                     // 000000002DA8: 82555580
	v_lshrrev_b32_e32 v4, 4, v0                                // 000000002DAC: 20080084
	v_lshlrev_b32_e32 v5, 2, v4                                // 000000002DB0: 240A0882
	v_and_b32_e32 v4, 15, v0                                   // 000000002DB4: 2608008F
	v_lshrrev_b32_e32 v6, 2, v4                                // 000000002DB8: 200C0882
	v_lshlrev_b32_e32 v6, 6, v6                                // 000000002DBC: 240C0C86
	v_add_u32_e32 v5, v6, v5                                   // 000000002DC0: 680A0B06
	v_and_b32_e32 v4, 3, v0                                    // 000000002DC4: 26080083
	v_add_u32_e32 v5, v4, v5                                   // 000000002DC8: 680A0B04
	v_lshlrev_b32_e32 v22, 2, v5                               // 000000002DCC: 242C0A82
	s_mul_i32 s60, s7, 16                                      // 000000002DD0: 923C9007
	s_mul_i32 s60, s60, 4                                      // 000000002DD4: 923C843C
	v_add_u32_e32 v22, s60, v22                                // 000000002DD8: 682C2C3C
	s_mul_i32 s60, s2, 64                                      // 000000002DDC: 923CC002
	s_mul_i32 s60, s60, 4                                      // 000000002DE0: 923C843C
	s_mul_i32 s61, s5, s74                                     // 000000002DE4: 923D4A05
	s_add_u32 s61, s61, s60                                    // 000000002DE8: 803D3C3D
	s_add_u32 s32, s61, s32                                    // 000000002DEC: 8020203D
	s_addc_u32 s33, 0, s33                                     // 000000002DF0: 82212180
	s_mov_b32 s57, 0x80                                        // 000000002DF4: BEB900FF 00000080
	s_mov_b32 s58, 0x800                                       // 000000002DFC: BEBA00FF 00000800
	s_mov_b32 s83, s58                                         // 000000002E04: BED3003A
	s_mov_b32 s52, 0x7060302                                   // 000000002E08: BEB400FF 07060302
	s_mov_b32 s53, 0x400                                       // 000000002E10: BEB500FF 00000400
	s_mov_b32 s54, 0x40100                                     // 000000002E18: BEB600FF 00040100
	s_mov_b32 s55, 0x4020100                                   // 000000002E20: BEB700FF 04020100
	s_mov_b32 s6, 0x3fb8aa3b                                   // 000000002E28: BE8600FF 3FB8AA3B
	s_mov_b32 s78, 0xbd92220c                                  // 000000002E30: BECE00FF BD92220C
	s_mov_b32 s79, 0xbd92220c                                  // 000000002E38: BECF00FF BD92220C
	s_mov_b32 m0, s48                                          // 000000002E40: BEFC0030
	v_mov_b32_e32 v1, 0xbfcc4231                               // 000000002E44: 7E0202FF BFCC4231
	v_mov_b32_e32 v17, 0xffff0000                              // 000000002E4C: 7E2202FF FFFF0000
	v_mov_b32_e32 v18, 0x7fff0000                              // 000000002E54: 7E2402FF 7FFF0000
	v_mov_b32_e32 v19, 0x7fff                                  // 000000002E5C: 7E2602FF 00007FFF
	s_waitcnt vmcnt(0) expcnt(0) lgkmcnt(0)                    // 000000002E64: BF8C0000
	v_lshrrev_b32_e32 v4, 5, v0                                // 000000002E68: 20080085
	v_xor_b32_e32 v5, 1, v4                                    // 000000002E6C: 2A0A0881
	v_readlane_b32 s82, v3, 0                                  // 000000002E70: D2890052 00010103
	s_and_b32 s82, s82, 0xffffff                               // 000000002E78: 8652FF52 00FFFFFF
	v_mul_lo_u32 v6, v5, s82                                   // 000000002E80: D2850006 0000A505
	v_readlane_b32 s82, v3, 1                                  // 000000002E88: D2890052 00010303
	s_and_b32 s82, s82, 0xffffff                               // 000000002E90: 8652FF52 00FFFFFF
	v_mul_lo_u32 v7, v4, s82                                   // 000000002E98: D2850007 0000A504
	v_add_u32_e32 v34, v6, v7                                  // 000000002EA0: 68440F06
	v_mul_lo_u32 v34, v34, s68                                 // 000000002EA4: D2850022 00008922
	v_readlane_b32 s82, v3, 2                                  // 000000002EAC: D2890052 00010503
	s_and_b32 s82, s82, 0xffffff                               // 000000002EB4: 8652FF52 00FFFFFF
	v_mul_lo_u32 v6, v5, s82                                   // 000000002EBC: D2850006 0000A505
	v_readlane_b32 s82, v3, 3                                  // 000000002EC4: D2890052 00010703
	s_and_b32 s82, s82, 0xffffff                               // 000000002ECC: 8652FF52 00FFFFFF
	v_mul_lo_u32 v7, v4, s82                                   // 000000002ED4: D2850007 0000A504
	v_add_u32_e32 v35, v6, v7                                  // 000000002EDC: 68460F06
	v_mul_lo_u32 v35, v35, s68                                 // 000000002EE0: D2850023 00008923
	v_and_b32_e32 v4, 31, v0                                   // 000000002EE8: 2608009F
	v_lshlrev_b32_e32 v4, 2, v4                                // 000000002EEC: 24080882
	v_add_u32_e32 v34, v34, v4                                 // 000000002EF0: 68440922
	v_add_u32_e32 v35, v35, v4                                 // 000000002EF4: 68460923
	v_and_b32_e32 v30, 0xffffff, v30                           // 000000002EF8: 263C3CFF 00FFFFFF
	v_lshlrev_b32_e32 v30, 2, v30                              // 000000002F00: 243C3C82
	s_lshl_b32 s3, s66, 2                                      // 000000002F04: 8E038242
	buffer_load_dword v31, v30, s[28:31], 0 offen              // 000000002F08: E0501000 80071F1E
	buffer_load_dword v24, v22, s[32:35], 0 offen              // 000000002F10: E0501000 80081816
	s_mul_i32 s60, 4, s65                                      // 000000002F18: 923C4184
	s_add_u32 s32, s60, s32                                    // 000000002F1C: 8020203C
	s_addc_u32 s33, 0, s33                                     // 000000002F20: 82212180
	buffer_load_dword v27, v22, s[32:35], 0 offen              // 000000002F24: E0501000 80081B16
	buffer_load_dword v34, s[20:23], 0 offen lds               // 000000002F2C: E0511000 80050022
	s_add_u32 m0, 0x100, s48                                   // 000000002F34: 807C30FF 00000100
	buffer_load_dword v35, s[20:23], 0 offen lds               // 000000002F3C: E0511000 80050023
	s_add_u32 m0, 0, s49                                       // 000000002F44: 807C3180
	s_add_u32 s20, s57, s20                                    // 000000002F48: 80141439
	s_addc_u32 s21, 0, s21                                     // 000000002F4C: 82151580
	buffer_load_dwordx4 a[16:19], v36, s[24:27], 0 offen       // 000000002F50: E05C1000 80861024
	buffer_load_dwordx4 a[20:23], v36, s[24:27], 0 offen offset:1024// 000000002F58: E05C1400 80861424
	s_add_u32 s24, s58, s24                                    // 000000002F60: 8018183A
	s_addc_u32 s25, 0, s25                                     // 000000002F64: 82191980
	buffer_load_dword v34, s[20:23], 0 offen lds               // 000000002F68: E0511000 80050022
	s_add_u32 m0, 0x100, s49                                   // 000000002F70: 807C31FF 00000100
	buffer_load_dword v35, s[20:23], 0 offen lds               // 000000002F78: E0511000 80050023
	s_add_u32 m0, 0, s50                                       // 000000002F80: 807C3280
	s_add_u32 s20, s57, s20                                    // 000000002F84: 80141439
	s_addc_u32 s21, 0, s21                                     // 000000002F88: 82151580
	buffer_load_dwordx4 a[24:27], v36, s[84:87], 0 offen       // 000000002F8C: E05C1000 80951824
	buffer_load_dwordx4 a[28:31], v36, s[84:87], 0 offen offset:1024// 000000002F94: E05C1400 80951C24
	s_add_u32 s84, s83, s84                                    // 000000002F9C: 80545453
	s_addc_u32 s85, 0, s85                                     // 000000002FA0: 82555580
	s_waitcnt vmcnt(6)                                         // 000000002FA4: BF8C0F76
	s_barrier                                                  // 000000002FA8: BF8A0000
	ds_read_b128 a[0:3], v2                                    // 000000002FAC: DBFE0000 00000002
	ds_read_b128 a[4:7], v2 offset:64                          // 000000002FB4: DBFE0040 04000002
	s_cmp_lt_i32 s7, 2                                         // 000000002FBC: BF048207
	s_cbranch_scc0 label_04CC                                  // 000000002FC0: BF840358

0000000000002fc4 <label_0171>:
	s_waitcnt vmcnt(4) lgkmcnt(0)                              // 000000002FC4: BF8C0074
	v_mfma_f32_16x16x32_fp8_fp8 v[40:43], a[16:17], a[0:1], v[40:43]// 000000002FC8: D3F30028 1CA20110
	v_mfma_f32_16x16x32_fp8_fp8 v[40:43], a[18:19], a[2:3], v[40:43]// 000000002FD0: D3F30028 1CA20512
	buffer_load_dwordx4 a[32:35], v36, s[24:27], 0 offen       // 000000002FD8: E05C1000 80862024
	v_mfma_f32_16x16x32_fp8_fp8 v[40:43], a[20:21], a[4:5], v[40:43]// 000000002FE0: D3F30028 1CA20914
	v_mfma_f32_16x16x32_fp8_fp8 v[40:43], a[22:23], a[6:7], v[40:43]// 000000002FE8: D3F30028 1CA20D16
	buffer_load_dwordx4 a[36:39], v36, s[24:27], 0 offen offset:1024// 000000002FF0: E05C1400 80862424
	buffer_load_dword v34, s[20:23], 0 offen lds               // 000000002FF8: E0511000 80050022
	s_add_u32 m0, 0x100, s50                                   // 000000003000: 807C32FF 00000100
	buffer_load_dword v35, s[20:23], 0 offen lds               // 000000003008: E0511000 80050023
	s_add_u32 m0, 0, s48                                       // 000000003010: 807C3080
	s_waitcnt vmcnt(4)                                         // 000000003014: BF8C0F74
	s_barrier                                                  // 000000003018: BF8A0000
	v_mfma_f32_16x16x32_fp8_fp8 v[44:47], a[24:25], a[0:1], v[44:47]// 00000000301C: D3F3002C 1CB20118
	v_mfma_f32_16x16x32_fp8_fp8 v[44:47], a[26:27], a[2:3], v[44:47]// 000000003024: D3F3002C 1CB2051A
	buffer_load_dwordx4 a[16:19], v36, s[84:87], 0 offen       // 00000000302C: E05C1000 80951024
	v_mfma_f32_16x16x32_fp8_fp8 v[44:47], a[28:29], a[4:5], v[44:47]// 000000003034: D3F3002C 1CB2091C
	v_mfma_f32_16x16x32_fp8_fp8 v[44:47], a[30:31], a[6:7], v[44:47]// 00000000303C: D3F3002C 1CB20D1E
	ds_read_b128 a[8:11], v2 offset:2176                       // 000000003044: DBFE0880 08000002
	ds_read_b128 a[12:15], v2 offset:2240                      // 00000000304C: DBFE08C0 0C000002
	buffer_load_dwordx4 a[20:23], v36, s[84:87], 0 offen offset:1024// 000000003054: E05C1400 80951424
	s_add_u32 s60, 0x180, s80                                  // 00000000305C: 803C50FF 00000180
	s_cmp_lt_u32 s60, s81                                      // 000000003064: BF0A513C
	s_cselect_b32 s57, s57, 0                                  // 000000003068: 85398039
	s_add_u32 s60, 0x100, s80                                  // 00000000306C: 803C50FF 00000100
	s_cmp_lt_u32 s60, s81                                      // 000000003074: BF0A513C
	s_cselect_b32 s58, s58, 0                                  // 000000003078: 853A803A
	s_add_u32 s60, 0x100, s80                                  // 00000000307C: 803C50FF 00000100
	s_cmp_lt_u32 s60, s81                                      // 000000003084: BF0A513C
	s_cselect_b32 s83, s83, 0                                  // 000000003088: 85538053
	s_add_u32 s20, s57, s20                                    // 00000000308C: 80141439
	s_addc_u32 s21, 0, s21                                     // 000000003090: 82151580
	s_add_u32 s84, s83, s84                                    // 000000003094: 80545453
	s_addc_u32 s85, 0, s85                                     // 000000003098: 82555580
	s_add_u32 s24, s58, s24                                    // 00000000309C: 8018183A
	s_addc_u32 s25, 0, s25                                     // 0000000030A0: 82191980
	s_addk_i32 s80, 0x80                                       // 0000000030A4: B7500080
	s_cmp_lt_i32 s80, s81                                      // 0000000030A8: BF045150
	s_cbranch_scc0 label_02D4                                  // 0000000030AC: BF840128
	s_waitcnt vmcnt(4) lgkmcnt(0)                              // 0000000030B0: BF8C0074
	v_mfma_f32_16x16x32_fp8_fp8 v[40:43], a[32:33], a[8:9], v[40:43]// 0000000030B4: D3F30028 1CA21120
	v_mfma_f32_16x16x32_fp8_fp8 v[40:43], a[34:35], a[10:11], v[40:43]// 0000000030BC: D3F30028 1CA21522
	buffer_load_dwordx4 a[24:27], v36, s[24:27], 0 offen       // 0000000030C4: E05C1000 80861824
	v_mfma_f32_16x16x32_fp8_fp8 v[40:43], a[36:37], a[12:13], v[40:43]// 0000000030CC: D3F30028 1CA21924
	v_mfma_f32_16x16x32_fp8_fp8 v[40:43], a[38:39], a[14:15], v[40:43]// 0000000030D4: D3F30028 1CA21D26
	buffer_load_dwordx4 a[28:31], v36, s[24:27], 0 offen offset:1024// 0000000030DC: E05C1400 80861C24
	buffer_load_dword v34, s[20:23], 0 offen lds               // 0000000030E4: E0511000 80050022
	s_add_u32 m0, 0x100, s48                                   // 0000000030EC: 807C30FF 00000100
	buffer_load_dword v35, s[20:23], 0 offen lds               // 0000000030F4: E0511000 80050023
	s_add_u32 m0, 0, s49                                       // 0000000030FC: 807C3180
	s_waitcnt vmcnt(4)                                         // 000000003100: BF8C0F74
	s_barrier                                                  // 000000003104: BF8A0000
	v_mfma_f32_16x16x32_fp8_fp8 v[44:47], a[16:17], a[8:9], v[44:47]// 000000003108: D3F3002C 1CB21110
	v_mfma_f32_16x16x32_fp8_fp8 v[44:47], a[18:19], a[10:11], v[44:47]// 000000003110: D3F3002C 1CB21512
	buffer_load_dwordx4 a[32:35], v36, s[84:87], 0 offen       // 000000003118: E05C1000 80952024
	v_mfma_f32_16x16x32_fp8_fp8 v[44:47], a[20:21], a[12:13], v[44:47]// 000000003120: D3F3002C 1CB21914
	v_mfma_f32_16x16x32_fp8_fp8 v[44:47], a[22:23], a[14:15], v[44:47]// 000000003128: D3F3002C 1CB21D16
	ds_read_b128 a[0:3], v2 offset:4352                        // 000000003130: DBFE1100 00000002
	ds_read_b128 a[4:7], v2 offset:4416                        // 000000003138: DBFE1140 04000002
	buffer_load_dwordx4 a[36:39], v36, s[84:87], 0 offen offset:1024// 000000003140: E05C1400 80952424
	s_add_u32 s60, 0x180, s80                                  // 000000003148: 803C50FF 00000180
	s_cmp_lt_u32 s60, s81                                      // 000000003150: BF0A513C
	s_cselect_b32 s57, s57, 0                                  // 000000003154: 85398039
	s_add_u32 s60, 0x100, s80                                  // 000000003158: 803C50FF 00000100
	s_cmp_lt_u32 s60, s81                                      // 000000003160: BF0A513C
	s_cselect_b32 s58, s58, 0                                  // 000000003164: 853A803A
	s_add_u32 s60, 0x100, s80                                  // 000000003168: 803C50FF 00000100
	s_cmp_lt_u32 s60, s81                                      // 000000003170: BF0A513C
	s_cselect_b32 s83, s83, 0                                  // 000000003174: 85538053
	s_add_u32 s20, s57, s20                                    // 000000003178: 80141439
	s_addc_u32 s21, 0, s21                                     // 00000000317C: 82151580
	s_add_u32 s84, s83, s84                                    // 000000003180: 80545453
	s_addc_u32 s85, 0, s85                                     // 000000003184: 82555580
	s_add_u32 s24, s58, s24                                    // 000000003188: 8018183A
	s_addc_u32 s25, 0, s25                                     // 00000000318C: 82191980
	s_addk_i32 s80, 0x80                                       // 000000003190: B7500080
	s_cmp_lt_i32 s80, s81                                      // 000000003194: BF045150
	s_cbranch_scc0 label_02D4                                  // 000000003198: BF8400ED
	s_waitcnt vmcnt(4) lgkmcnt(0)                              // 00000000319C: BF8C0074
	v_mfma_f32_16x16x32_fp8_fp8 v[40:43], a[24:25], a[0:1], v[40:43]// 0000000031A0: D3F30028 1CA20118
	v_mfma_f32_16x16x32_fp8_fp8 v[40:43], a[26:27], a[2:3], v[40:43]// 0000000031A8: D3F30028 1CA2051A
	buffer_load_dwordx4 a[16:19], v36, s[24:27], 0 offen       // 0000000031B0: E05C1000 80861024
	v_mfma_f32_16x16x32_fp8_fp8 v[40:43], a[28:29], a[4:5], v[40:43]// 0000000031B8: D3F30028 1CA2091C
	v_mfma_f32_16x16x32_fp8_fp8 v[40:43], a[30:31], a[6:7], v[40:43]// 0000000031C0: D3F30028 1CA20D1E
	buffer_load_dwordx4 a[20:23], v36, s[24:27], 0 offen offset:1024// 0000000031C8: E05C1400 80861424
	buffer_load_dword v34, s[20:23], 0 offen lds               // 0000000031D0: E0511000 80050022
	s_add_u32 m0, 0x100, s49                                   // 0000000031D8: 807C31FF 00000100
	buffer_load_dword v35, s[20:23], 0 offen lds               // 0000000031E0: E0511000 80050023
	s_add_u32 m0, 0, s50                                       // 0000000031E8: 807C3280
	s_waitcnt vmcnt(4)                                         // 0000000031EC: BF8C0F74
	s_barrier                                                  // 0000000031F0: BF8A0000
	v_mfma_f32_16x16x32_fp8_fp8 v[44:47], a[32:33], a[0:1], v[44:47]// 0000000031F4: D3F3002C 1CB20120
	v_mfma_f32_16x16x32_fp8_fp8 v[44:47], a[34:35], a[2:3], v[44:47]// 0000000031FC: D3F3002C 1CB20522
	buffer_load_dwordx4 a[24:27], v36, s[84:87], 0 offen       // 000000003204: E05C1000 80951824
	v_mfma_f32_16x16x32_fp8_fp8 v[44:47], a[36:37], a[4:5], v[44:47]// 00000000320C: D3F3002C 1CB20924
	v_mfma_f32_16x16x32_fp8_fp8 v[44:47], a[38:39], a[6:7], v[44:47]// 000000003214: D3F3002C 1CB20D26
	ds_read_b128 a[8:11], v2                                   // 00000000321C: DBFE0000 08000002
	ds_read_b128 a[12:15], v2 offset:64                        // 000000003224: DBFE0040 0C000002
	buffer_load_dwordx4 a[28:31], v36, s[84:87], 0 offen offset:1024// 00000000322C: E05C1400 80951C24
	s_add_u32 s60, 0x180, s80                                  // 000000003234: 803C50FF 00000180
	s_cmp_lt_u32 s60, s81                                      // 00000000323C: BF0A513C
	s_cselect_b32 s57, s57, 0                                  // 000000003240: 85398039
	s_add_u32 s60, 0x100, s80                                  // 000000003244: 803C50FF 00000100
	s_cmp_lt_u32 s60, s81                                      // 00000000324C: BF0A513C
	s_cselect_b32 s58, s58, 0                                  // 000000003250: 853A803A
	s_add_u32 s60, 0x100, s80                                  // 000000003254: 803C50FF 00000100
	s_cmp_lt_u32 s60, s81                                      // 00000000325C: BF0A513C
	s_cselect_b32 s83, s83, 0                                  // 000000003260: 85538053
	s_add_u32 s20, s57, s20                                    // 000000003264: 80141439
	s_addc_u32 s21, 0, s21                                     // 000000003268: 82151580
	s_add_u32 s84, s83, s84                                    // 00000000326C: 80545453
	s_addc_u32 s85, 0, s85                                     // 000000003270: 82555580
	s_add_u32 s24, s58, s24                                    // 000000003274: 8018183A
	s_addc_u32 s25, 0, s25                                     // 000000003278: 82191980
	s_addk_i32 s80, 0x80                                       // 00000000327C: B7500080
	s_cmp_lt_i32 s80, s81                                      // 000000003280: BF045150
	s_cbranch_scc0 label_02D4                                  // 000000003284: BF8400B2
	s_waitcnt vmcnt(4) lgkmcnt(0)                              // 000000003288: BF8C0074
	v_mfma_f32_16x16x32_fp8_fp8 v[40:43], a[16:17], a[8:9], v[40:43]// 00000000328C: D3F30028 1CA21110
	v_mfma_f32_16x16x32_fp8_fp8 v[40:43], a[18:19], a[10:11], v[40:43]// 000000003294: D3F30028 1CA21512
	buffer_load_dwordx4 a[32:35], v36, s[24:27], 0 offen       // 00000000329C: E05C1000 80862024
	v_mfma_f32_16x16x32_fp8_fp8 v[40:43], a[20:21], a[12:13], v[40:43]// 0000000032A4: D3F30028 1CA21914
	v_mfma_f32_16x16x32_fp8_fp8 v[40:43], a[22:23], a[14:15], v[40:43]// 0000000032AC: D3F30028 1CA21D16
	buffer_load_dwordx4 a[36:39], v36, s[24:27], 0 offen offset:1024// 0000000032B4: E05C1400 80862424
	buffer_load_dword v34, s[20:23], 0 offen lds               // 0000000032BC: E0511000 80050022
	s_add_u32 m0, 0x100, s50                                   // 0000000032C4: 807C32FF 00000100
	buffer_load_dword v35, s[20:23], 0 offen lds               // 0000000032CC: E0511000 80050023
	s_add_u32 m0, 0, s48                                       // 0000000032D4: 807C3080
	s_waitcnt vmcnt(4)                                         // 0000000032D8: BF8C0F74
	s_barrier                                                  // 0000000032DC: BF8A0000
	v_mfma_f32_16x16x32_fp8_fp8 v[44:47], a[24:25], a[8:9], v[44:47]// 0000000032E0: D3F3002C 1CB21118
	v_mfma_f32_16x16x32_fp8_fp8 v[44:47], a[26:27], a[10:11], v[44:47]// 0000000032E8: D3F3002C 1CB2151A
	buffer_load_dwordx4 a[16:19], v36, s[84:87], 0 offen       // 0000000032F0: E05C1000 80951024
	v_mfma_f32_16x16x32_fp8_fp8 v[44:47], a[28:29], a[12:13], v[44:47]// 0000000032F8: D3F3002C 1CB2191C
	v_mfma_f32_16x16x32_fp8_fp8 v[44:47], a[30:31], a[14:15], v[44:47]// 000000003300: D3F3002C 1CB21D1E
	ds_read_b128 a[0:3], v2 offset:2176                        // 000000003308: DBFE0880 00000002
	ds_read_b128 a[4:7], v2 offset:2240                        // 000000003310: DBFE08C0 04000002
	buffer_load_dwordx4 a[20:23], v36, s[84:87], 0 offen offset:1024// 000000003318: E05C1400 80951424
	s_add_u32 s60, 0x180, s80                                  // 000000003320: 803C50FF 00000180
	s_cmp_lt_u32 s60, s81                                      // 000000003328: BF0A513C
	s_cselect_b32 s57, s57, 0                                  // 00000000332C: 85398039
	s_add_u32 s60, 0x100, s80                                  // 000000003330: 803C50FF 00000100
	s_cmp_lt_u32 s60, s81                                      // 000000003338: BF0A513C
	s_cselect_b32 s58, s58, 0                                  // 00000000333C: 853A803A
	s_add_u32 s60, 0x100, s80                                  // 000000003340: 803C50FF 00000100
	s_cmp_lt_u32 s60, s81                                      // 000000003348: BF0A513C
	s_cselect_b32 s83, s83, 0                                  // 00000000334C: 85538053
	s_add_u32 s20, s57, s20                                    // 000000003350: 80141439
	s_addc_u32 s21, 0, s21                                     // 000000003354: 82151580
	s_add_u32 s84, s83, s84                                    // 000000003358: 80545453
	s_addc_u32 s85, 0, s85                                     // 00000000335C: 82555580
	s_add_u32 s24, s58, s24                                    // 000000003360: 8018183A
	s_addc_u32 s25, 0, s25                                     // 000000003364: 82191980
	s_addk_i32 s80, 0x80                                       // 000000003368: B7500080
	s_cmp_lt_i32 s80, s81                                      // 00000000336C: BF045150
	s_cbranch_scc0 label_02D4                                  // 000000003370: BF840077
	s_waitcnt vmcnt(4) lgkmcnt(0)                              // 000000003374: BF8C0074
	v_mfma_f32_16x16x32_fp8_fp8 v[40:43], a[32:33], a[0:1], v[40:43]// 000000003378: D3F30028 1CA20120
	v_mfma_f32_16x16x32_fp8_fp8 v[40:43], a[34:35], a[2:3], v[40:43]// 000000003380: D3F30028 1CA20522
	buffer_load_dwordx4 a[24:27], v36, s[24:27], 0 offen       // 000000003388: E05C1000 80861824
	v_mfma_f32_16x16x32_fp8_fp8 v[40:43], a[36:37], a[4:5], v[40:43]// 000000003390: D3F30028 1CA20924
	v_mfma_f32_16x16x32_fp8_fp8 v[40:43], a[38:39], a[6:7], v[40:43]// 000000003398: D3F30028 1CA20D26
	buffer_load_dwordx4 a[28:31], v36, s[24:27], 0 offen offset:1024// 0000000033A0: E05C1400 80861C24
	buffer_load_dword v34, s[20:23], 0 offen lds               // 0000000033A8: E0511000 80050022
	s_add_u32 m0, 0x100, s48                                   // 0000000033B0: 807C30FF 00000100
	buffer_load_dword v35, s[20:23], 0 offen lds               // 0000000033B8: E0511000 80050023
	s_add_u32 m0, 0, s49                                       // 0000000033C0: 807C3180
	s_waitcnt vmcnt(4)                                         // 0000000033C4: BF8C0F74
	s_barrier                                                  // 0000000033C8: BF8A0000
	v_mfma_f32_16x16x32_fp8_fp8 v[44:47], a[16:17], a[0:1], v[44:47]// 0000000033CC: D3F3002C 1CB20110
	v_mfma_f32_16x16x32_fp8_fp8 v[44:47], a[18:19], a[2:3], v[44:47]// 0000000033D4: D3F3002C 1CB20512
	buffer_load_dwordx4 a[32:35], v36, s[84:87], 0 offen       // 0000000033DC: E05C1000 80952024
	v_mfma_f32_16x16x32_fp8_fp8 v[44:47], a[20:21], a[4:5], v[44:47]// 0000000033E4: D3F3002C 1CB20914
	v_mfma_f32_16x16x32_fp8_fp8 v[44:47], a[22:23], a[6:7], v[44:47]// 0000000033EC: D3F3002C 1CB20D16
	ds_read_b128 a[8:11], v2 offset:4352                       // 0000000033F4: DBFE1100 08000002
	ds_read_b128 a[12:15], v2 offset:4416                      // 0000000033FC: DBFE1140 0C000002
	buffer_load_dwordx4 a[36:39], v36, s[84:87], 0 offen offset:1024// 000000003404: E05C1400 80952424
	s_add_u32 s60, 0x180, s80                                  // 00000000340C: 803C50FF 00000180
	s_cmp_lt_u32 s60, s81                                      // 000000003414: BF0A513C
	s_cselect_b32 s57, s57, 0                                  // 000000003418: 85398039
	s_add_u32 s60, 0x100, s80                                  // 00000000341C: 803C50FF 00000100
	s_cmp_lt_u32 s60, s81                                      // 000000003424: BF0A513C
	s_cselect_b32 s58, s58, 0                                  // 000000003428: 853A803A
	s_add_u32 s60, 0x100, s80                                  // 00000000342C: 803C50FF 00000100
	s_cmp_lt_u32 s60, s81                                      // 000000003434: BF0A513C
	s_cselect_b32 s83, s83, 0                                  // 000000003438: 85538053
	s_add_u32 s20, s57, s20                                    // 00000000343C: 80141439
	s_addc_u32 s21, 0, s21                                     // 000000003440: 82151580
	s_add_u32 s84, s83, s84                                    // 000000003444: 80545453
	s_addc_u32 s85, 0, s85                                     // 000000003448: 82555580
	s_add_u32 s24, s58, s24                                    // 00000000344C: 8018183A
	s_addc_u32 s25, 0, s25                                     // 000000003450: 82191980
	s_addk_i32 s80, 0x80                                       // 000000003454: B7500080
	s_cmp_lt_i32 s80, s81                                      // 000000003458: BF045150
	s_cbranch_scc0 label_02D4                                  // 00000000345C: BF84003C
	s_waitcnt vmcnt(4) lgkmcnt(0)                              // 000000003460: BF8C0074
	v_mfma_f32_16x16x32_fp8_fp8 v[40:43], a[24:25], a[8:9], v[40:43]// 000000003464: D3F30028 1CA21118
	v_mfma_f32_16x16x32_fp8_fp8 v[40:43], a[26:27], a[10:11], v[40:43]// 00000000346C: D3F30028 1CA2151A
	buffer_load_dwordx4 a[16:19], v36, s[24:27], 0 offen       // 000000003474: E05C1000 80861024
	v_mfma_f32_16x16x32_fp8_fp8 v[40:43], a[28:29], a[12:13], v[40:43]// 00000000347C: D3F30028 1CA2191C
	v_mfma_f32_16x16x32_fp8_fp8 v[40:43], a[30:31], a[14:15], v[40:43]// 000000003484: D3F30028 1CA21D1E
	buffer_load_dwordx4 a[20:23], v36, s[24:27], 0 offen offset:1024// 00000000348C: E05C1400 80861424
	buffer_load_dword v34, s[20:23], 0 offen lds               // 000000003494: E0511000 80050022
	s_add_u32 m0, 0x100, s49                                   // 00000000349C: 807C31FF 00000100
	buffer_load_dword v35, s[20:23], 0 offen lds               // 0000000034A4: E0511000 80050023
	s_add_u32 m0, 0, s50                                       // 0000000034AC: 807C3280
	s_waitcnt vmcnt(4)                                         // 0000000034B0: BF8C0F74
	s_barrier                                                  // 0000000034B4: BF8A0000
	v_mfma_f32_16x16x32_fp8_fp8 v[44:47], a[32:33], a[8:9], v[44:47]// 0000000034B8: D3F3002C 1CB21120
	v_mfma_f32_16x16x32_fp8_fp8 v[44:47], a[34:35], a[10:11], v[44:47]// 0000000034C0: D3F3002C 1CB21522
	buffer_load_dwordx4 a[24:27], v36, s[84:87], 0 offen       // 0000000034C8: E05C1000 80951824
	v_mfma_f32_16x16x32_fp8_fp8 v[44:47], a[36:37], a[12:13], v[44:47]// 0000000034D0: D3F3002C 1CB21924
	v_mfma_f32_16x16x32_fp8_fp8 v[44:47], a[38:39], a[14:15], v[44:47]// 0000000034D8: D3F3002C 1CB21D26
	ds_read_b128 a[0:3], v2                                    // 0000000034E0: DBFE0000 00000002
	ds_read_b128 a[4:7], v2 offset:64                          // 0000000034E8: DBFE0040 04000002
	buffer_load_dwordx4 a[28:31], v36, s[84:87], 0 offen offset:1024// 0000000034F0: E05C1400 80951C24
	s_add_u32 s60, 0x180, s80                                  // 0000000034F8: 803C50FF 00000180
	s_cmp_lt_u32 s60, s81                                      // 000000003500: BF0A513C
	s_cselect_b32 s57, s57, 0                                  // 000000003504: 85398039
	s_add_u32 s60, 0x100, s80                                  // 000000003508: 803C50FF 00000100
	s_cmp_lt_u32 s60, s81                                      // 000000003510: BF0A513C
	s_cselect_b32 s58, s58, 0                                  // 000000003514: 853A803A
	s_add_u32 s60, 0x100, s80                                  // 000000003518: 803C50FF 00000100
	s_cmp_lt_u32 s60, s81                                      // 000000003520: BF0A513C
	s_cselect_b32 s83, s83, 0                                  // 000000003524: 85538053
	s_add_u32 s20, s57, s20                                    // 000000003528: 80141439
	s_addc_u32 s21, 0, s21                                     // 00000000352C: 82151580
	s_add_u32 s84, s83, s84                                    // 000000003530: 80545453
	s_addc_u32 s85, 0, s85                                     // 000000003534: 82555580
	s_add_u32 s24, s58, s24                                    // 000000003538: 8018183A
	s_addc_u32 s25, 0, s25                                     // 00000000353C: 82191980
	s_addk_i32 s80, 0x80                                       // 000000003540: B7500080
	s_cmp_lt_i32 s80, s81                                      // 000000003544: BF045150
	s_cbranch_scc0 label_02D4                                  // 000000003548: BF840001
	s_branch label_0171                                        // 00000000354C: BF82FE9D

0000000000003550 <label_02D4>:
	v_mul_f32_dpp v40, v24, v40 row_newbcast:0 row_mask:0xf bank_mask:0xf// 000000003550: 0A5050FA FF015018
	v_mul_f32_dpp v41, v24, v41 row_newbcast:1 row_mask:0xf bank_mask:0xf// 000000003558: 0A5252FA FF015118
	v_mul_f32_dpp v42, v24, v42 row_newbcast:2 row_mask:0xf bank_mask:0xf// 000000003560: 0A5454FA FF015218
	v_mul_f32_dpp v43, v24, v43 row_newbcast:3 row_mask:0xf bank_mask:0xf// 000000003568: 0A5656FA FF015318
	v_mul_f32_dpp v44, v27, v44 row_newbcast:0 row_mask:0xf bank_mask:0xf// 000000003570: 0A5858FA FF01501B
	v_mul_f32_dpp v45, v27, v45 row_newbcast:1 row_mask:0xf bank_mask:0xf// 000000003578: 0A5A5AFA FF01511B
	v_mul_f32_dpp v46, v27, v46 row_newbcast:2 row_mask:0xf bank_mask:0xf// 000000003580: 0A5C5CFA FF01521B
	v_mul_f32_dpp v47, v27, v47 row_newbcast:3 row_mask:0xf bank_mask:0xf// 000000003588: 0A5E5EFA FF01531B
	v_mov_b32_e32 v4, v31                                      // 000000003590: 7E08031F
	v_mov_b32_e32 v5, v4                                       // 000000003594: 7E0A0304
	v_pk_mul_f32 v[40:41], v[4:5], v[40:41]                    // 000000003598: D3B14028 18025104
	v_pk_mul_f32 v[44:45], v[4:5], v[44:45]                    // 0000000035A0: D3B1402C 18025904
	v_pk_mul_f32 v[42:43], v[4:5], v[42:43]                    // 0000000035A8: D3B1402A 18025504
	v_pk_mul_f32 v[46:47], v[4:5], v[46:47]                    // 0000000035B0: D3B1402E 18025D04
	s_cmp_eq_u32 s88, 0                                        // 0000000035B8: BF068058
	s_cbranch_scc0 label_03CB                                  // 0000000035BC: BF8400DB
	s_cmp_eq_u32 s89, 0                                        // 0000000035C0: BF068059
	s_cbranch_scc1 label_031F                                  // 0000000035C4: BF85002D
	v_mov_b32_e32 v8, v1                                       // 0000000035C8: 7E100301
	v_mov_b32_e32 v9, v1                                       // 0000000035CC: 7E120301
	s_mov_b32 s60, s6                                          // 0000000035D0: BEBC0006
	s_mov_b32 s61, s6                                          // 0000000035D4: BEBD0006
	v_pk_mul_f32 v[4:5], v[40:41], v[40:41]                    // 0000000035D8: D3B14004 18025128
	v_pk_mul_f32 v[6:7], v[42:43], v[42:43]                    // 0000000035E0: D3B14006 1802552A
	v_pk_fma_f32 v[4:5], v[4:5], s[78:79], v[8:9]              // 0000000035E8: D3B04004 1C209D04
	v_pk_fma_f32 v[6:7], v[6:7], s[78:79], v[8:9]              // 0000000035F0: D3B04006 1C209D06
	v_pk_mul_f32 v[4:5], v[4:5], v[40:41]                      // 0000000035F8: D3B14004 18025104
	v_pk_mul_f32 v[6:7], v[6:7], v[42:43]                      // 000000003600: D3B14006 18025506
	v_pk_mul_f32 v[4:5], v[4:5], s[60:61]                      // 000000003608: D3B14004 18007904
	v_pk_mul_f32 v[6:7], v[6:7], s[60:61]                      // 000000003610: D3B14006 18007906
	v_exp_f32_e32 v4, v4                                       // 000000003618: 7E084104
	v_exp_f32_e32 v5, v5                                       // 00000000361C: 7E0A4105
	v_exp_f32_e32 v6, v6                                       // 000000003620: 7E0C4106
	v_exp_f32_e32 v7, v7                                       // 000000003624: 7E0E4107
	v_add_f32_e64 v4, v4, 1.0                                  // 000000003628: D1010004 0001E504
	v_add_f32_e64 v5, v5, 1.0                                  // 000000003630: D1010005 0001E505
	v_add_f32_e64 v6, v6, 1.0                                  // 000000003638: D1010006 0001E506
	v_add_f32_e64 v7, v7, 1.0                                  // 000000003640: D1010007 0001E507
	v_rcp_f32_e32 v4, v4                                       // 000000003648: 7E084504
	v_rcp_f32_e32 v5, v5                                       // 00000000364C: 7E0A4505
	v_rcp_f32_e32 v6, v6                                       // 000000003650: 7E0C4506
	v_rcp_f32_e32 v7, v7                                       // 000000003654: 7E0E4507
	v_mul_f32_e32 v40, v40, v4                                 // 000000003658: 0A500928
	v_mul_f32_e32 v41, v41, v5                                 // 00000000365C: 0A520B29
	v_mul_f32_e32 v42, v42, v6                                 // 000000003660: 0A540D2A
	v_mul_f32_e32 v43, v43, v7                                 // 000000003664: 0A560F2B
	v_mul_f32_e32 v40, v40, v44                                // 000000003668: 0A505928
	v_mul_f32_e32 v41, v41, v45                                // 00000000366C: 0A525B29
	v_mul_f32_e32 v42, v42, v46                                // 000000003670: 0A545D2A
	v_mul_f32_e32 v43, v43, v47                                // 000000003674: 0A565F2B
	s_branch label_033F                                        // 000000003678: BF820020

000000000000367c <label_031F>:
	v_mul_f32_e64 v4, -v40, s6                                 // 00000000367C: D1050004 20000D28
	v_mul_f32_e64 v5, -v41, s6                                 // 000000003684: D1050005 20000D29
	v_mul_f32_e64 v6, -v42, s6                                 // 00000000368C: D1050006 20000D2A
	v_mul_f32_e64 v7, -v43, s6                                 // 000000003694: D1050007 20000D2B
	v_exp_f32_e32 v4, v4                                       // 00000000369C: 7E084104
	v_exp_f32_e32 v5, v5                                       // 0000000036A0: 7E0A4105
	v_exp_f32_e32 v6, v6                                       // 0000000036A4: 7E0C4106
	v_exp_f32_e32 v7, v7                                       // 0000000036A8: 7E0E4107
	v_add_f32_e64 v4, v4, 1.0                                  // 0000000036AC: D1010004 0001E504
	v_add_f32_e64 v5, v5, 1.0                                  // 0000000036B4: D1010005 0001E505
	v_add_f32_e64 v6, v6, 1.0                                  // 0000000036BC: D1010006 0001E506
	v_add_f32_e64 v7, v7, 1.0                                  // 0000000036C4: D1010007 0001E507
	v_rcp_f32_e32 v4, v4                                       // 0000000036CC: 7E084504
	v_rcp_f32_e32 v5, v5                                       // 0000000036D0: 7E0A4505
	v_rcp_f32_e32 v6, v6                                       // 0000000036D4: 7E0C4506
	v_rcp_f32_e32 v7, v7                                       // 0000000036D8: 7E0E4507
	v_mul_f32_e32 v40, v40, v4                                 // 0000000036DC: 0A500928
	v_mul_f32_e32 v41, v41, v5                                 // 0000000036E0: 0A520B29
	v_mul_f32_e32 v42, v42, v6                                 // 0000000036E4: 0A540D2A
	v_mul_f32_e32 v43, v43, v7                                 // 0000000036E8: 0A560F2B
	v_mul_f32_e32 v40, v40, v44                                // 0000000036EC: 0A505928
	v_mul_f32_e32 v41, v41, v45                                // 0000000036F0: 0A525B29
	v_mul_f32_e32 v42, v42, v46                                // 0000000036F4: 0A545D2A
	v_mul_f32_e32 v43, v43, v47                                // 0000000036F8: 0A565F2B

00000000000036fc <label_033F>:
	v_cmp_u_f32_e64 s[46:47], v40, v40                         // 0000000036FC: D048002E 00025128
	v_add3_u32 v16, v40, v19, 1                                // 000000003704: D1FF0010 02062728
	v_cndmask_b32_e64 v4, v16, v18, s[46:47]                   // 00000000370C: D1000004 00BA2510
	v_cmp_u_f32_e64 s[46:47], v41, v41                         // 000000003714: D048002E 00025329
	v_add3_u32 v16, v41, v19, 1                                // 00000000371C: D1FF0010 02062729
	v_cndmask_b32_e64 v5, v16, v18, s[46:47]                   // 000000003724: D1000005 00BA2510
	v_perm_b32 v40, v5, v4, s52                                // 00000000372C: D1ED0028 00D20905
	v_cmp_u_f32_e64 s[46:47], v42, v42                         // 000000003734: D048002E 0002552A
	v_add3_u32 v16, v42, v19, 1                                // 00000000373C: D1FF0010 0206272A
	v_cndmask_b32_e64 v4, v16, v18, s[46:47]                   // 000000003744: D1000004 00BA2510
	v_cmp_u_f32_e64 s[46:47], v43, v43                         // 00000000374C: D048002E 0002572B
	v_add3_u32 v16, v43, v19, 1                                // 000000003754: D1FF0010 0206272B
	v_cndmask_b32_e64 v5, v16, v18, s[46:47]                   // 00000000375C: D1000005 00BA2510
	v_perm_b32 v41, v5, v4, s52                                // 000000003764: D1ED0029 00D20905
	ds_write_b64 v20, v[40:41]                                 // 00000000376C: D89A0000 00002814
	v_lshrrev_b32_e32 v4, 5, v0                                // 000000003774: 20080085
	v_xor_b32_e32 v5, 1, v4                                    // 000000003778: 2A0A0881
	s_mul_i32 s60, s65, 2                                      // 00000000377C: 923C8241
	s_cmp_eq_u32 s88, 0                                        // 000000003780: BF068058
	s_cselect_b32 s61, 1, 4                                    // 000000003784: 853D8481
	s_mul_i32 s60, s61, s60                                    // 000000003788: 923C3C3D
	v_readlane_b32 s82, v3, 0                                  // 00000000378C: D2890052 00010103
	s_lshr_b32 s61, s82, 24                                    // 000000003794: 8F3D9852
	s_and_b32 s82, s82, 0xffffff                               // 000000003798: 8652FF52 00FFFFFF
	s_mul_i32 s82, s82, s71                                    // 0000000037A0: 92524752
	s_mul_i32 s61, s60, s61                                    // 0000000037A4: 923D3D3C
	s_add_u32 s82, s82, s61                                    // 0000000037A8: 80523D52
	v_mul_lo_u32 v6, v5, s82                                   // 0000000037AC: D2850006 0000A505
	v_readlane_b32 s82, v3, 1                                  // 0000000037B4: D2890052 00010303
	s_lshr_b32 s61, s82, 24                                    // 0000000037BC: 8F3D9852
	s_and_b32 s82, s82, 0xffffff                               // 0000000037C0: 8652FF52 00FFFFFF
	s_mul_i32 s82, s82, s71                                    // 0000000037C8: 92524752
	s_mul_i32 s61, s60, s61                                    // 0000000037CC: 923D3D3C
	s_add_u32 s82, s82, s61                                    // 0000000037D0: 80523D52
	v_mul_lo_u32 v7, v4, s82                                   // 0000000037D4: D2850007 0000A504
	v_add_u32_e32 v34, v6, v7                                  // 0000000037DC: 68440F06
	v_readlane_b32 s82, v3, 2                                  // 0000000037E0: D2890052 00010503
	s_lshr_b32 s61, s82, 24                                    // 0000000037E8: 8F3D9852
	s_and_b32 s82, s82, 0xffffff                               // 0000000037EC: 8652FF52 00FFFFFF
	s_mul_i32 s82, s82, s71                                    // 0000000037F4: 92524752
	s_mul_i32 s61, s60, s61                                    // 0000000037F8: 923D3D3C
	s_add_u32 s82, s82, s61                                    // 0000000037FC: 80523D52
	v_mul_lo_u32 v6, v5, s82                                   // 000000003800: D2850006 0000A505
	v_readlane_b32 s82, v3, 3                                  // 000000003808: D2890052 00010703
	s_lshr_b32 s61, s82, 24                                    // 000000003810: 8F3D9852
	s_and_b32 s82, s82, 0xffffff                               // 000000003814: 8652FF52 00FFFFFF
	s_mul_i32 s82, s82, s71                                    // 00000000381C: 92524752
	s_mul_i32 s61, s60, s61                                    // 000000003820: 923D3D3C
	s_add_u32 s82, s82, s61                                    // 000000003824: 80523D52
	v_mul_lo_u32 v7, v4, s82                                   // 000000003828: D2850007 0000A504
	v_add_u32_e32 v35, v6, v7                                  // 000000003830: 68460F06
	v_and_b32_e32 v4, 31, v0                                   // 000000003834: 2608009F
	v_lshrrev_b32_e32 v4, 1, v4                                // 000000003838: 20080881
	s_cmp_eq_u32 s88, 0                                        // 00000000383C: BF068058
	s_cselect_b32 s61, 2, 4                                    // 000000003840: 853D8482
	v_mul_lo_u32 v4, v4, s61                                   // 000000003844: D2850004 00007B04
	v_and_b32_e64 v5, v0, 1                                    // 00000000384C: D1130005 00010300
	v_add_u32_e32 v4, v4, v5                                   // 000000003854: 68080B04
	v_lshlrev_b32_e32 v4, 2, v4                                // 000000003858: 24080882
	v_add_u32_e32 v34, v34, v4                                 // 00000000385C: 68440922
	v_add_u32_e32 v35, v35, v4                                 // 000000003860: 68460923
	s_waitcnt lgkmcnt(0)                                       // 000000003864: BF8CC07F
	s_barrier                                                  // 000000003868: BF8A0000
	ds_read_b32 v40, v21                                       // 00000000386C: D86C0000 28000015
	ds_read_b32 v41, v21 offset:64                             // 000000003874: D86C0040 29000015
	s_waitcnt lgkmcnt(0)                                       // 00000000387C: BF8CC07F
	s_mov_b32 s36, -1                                          // 000000003880: BEA400C1
	s_mov_b32 s37, -1                                          // 000000003884: BEA500C1
	v_mov_b32_e32 v7, 0                                        // 000000003888: 7E0E0280
	s_or_b32 s9, s9, 0x40000                                   // 00000000388C: 8709FF09 00040000
	s_mov_b64 exec, s[36:37]                                   // 000000003894: BEFE0124
	v_mov_b32_e32 v6, v34                                      // 000000003898: 7E0C0322
	s_mov_b64 s[60:61], 0                                      // 00000000389C: BEBC0180
	v_readlane_b32 s82, v3, 0                                  // 0000000038A0: D2890052 00010103
	s_and_b32 s82, s82, 0xffffff                               // 0000000038A8: 8652FF52 00FFFFFF
	s_cmp_lt_u32 s82, s66                                      // 0000000038B0: BF0A4252
	s_cselect_b32 s20, s36, s60                                // 0000000038B4: 85143C24
	v_readlane_b32 s82, v3, 1                                  // 0000000038B8: D2890052 00010303
	s_and_b32 s82, s82, 0xffffff                               // 0000000038C0: 8652FF52 00FFFFFF
	s_cmp_lt_u32 s82, s66                                      // 0000000038C8: BF0A4252
	s_cselect_b32 s21, s36, s60                                // 0000000038CC: 85153C24
	s_mov_b64 exec, s[20:21]                                   // 0000000038D0: BEFE0114
	buffer_store_dword v40, v6, s[8:11], 0 offen               // 0000000038D4: E0701000 80022806
	s_mov_b64 exec, s[36:37]                                   // 0000000038DC: BEFE0124
	v_mov_b32_e32 v6, v35                                      // 0000000038E0: 7E0C0323
	s_mov_b64 s[60:61], 0                                      // 0000000038E4: BEBC0180
	v_readlane_b32 s82, v3, 2                                  // 0000000038E8: D2890052 00010503
	s_and_b32 s82, s82, 0xffffff                               // 0000000038F0: 8652FF52 00FFFFFF
	s_cmp_lt_u32 s82, s66                                      // 0000000038F8: BF0A4252
	s_cselect_b32 s20, s36, s60                                // 0000000038FC: 85143C24
	v_readlane_b32 s82, v3, 3                                  // 000000003900: D2890052 00010703
	s_and_b32 s82, s82, 0xffffff                               // 000000003908: 8652FF52 00FFFFFF
	s_cmp_lt_u32 s82, s66                                      // 000000003910: BF0A4252
	s_cselect_b32 s21, s36, s60                                // 000000003914: 85153C24
	s_mov_b64 exec, s[20:21]                                   // 000000003918: BEFE0114
	buffer_store_dword v41, v6, s[8:11], 0 offen               // 00000000391C: E0701000 80022906
	s_mov_b64 exec, s[36:37]                                   // 000000003924: BEFE0124
	s_branch label_0824                                        // 000000003928: BF820456

000000000000392c <label_03CB>:
	ds_write_b64 v20, v[40:41]                                 // 00000000392C: D89A0000 00002814
	v_lshrrev_b32_e32 v4, 5, v0                                // 000000003934: 20080085
	v_xor_b32_e32 v5, 1, v4                                    // 000000003938: 2A0A0881
	s_mul_i32 s60, s65, 2                                      // 00000000393C: 923C8241
	s_cmp_eq_u32 s88, 0                                        // 000000003940: BF068058
	s_cselect_b32 s61, 1, 4                                    // 000000003944: 853D8481
	s_mul_i32 s60, s61, s60                                    // 000000003948: 923C3C3D
	v_readlane_b32 s82, v3, 0                                  // 00000000394C: D2890052 00010103
	s_lshr_b32 s61, s82, 24                                    // 000000003954: 8F3D9852
	s_and_b32 s82, s82, 0xffffff                               // 000000003958: 8652FF52 00FFFFFF
	s_mul_i32 s82, s82, s71                                    // 000000003960: 92524752
	s_mul_i32 s61, s60, s61                                    // 000000003964: 923D3D3C
	s_add_u32 s82, s82, s61                                    // 000000003968: 80523D52
	v_mul_lo_u32 v6, v5, s82                                   // 00000000396C: D2850006 0000A505
	v_readlane_b32 s82, v3, 1                                  // 000000003974: D2890052 00010303
	s_lshr_b32 s61, s82, 24                                    // 00000000397C: 8F3D9852
	s_and_b32 s82, s82, 0xffffff                               // 000000003980: 8652FF52 00FFFFFF
	s_mul_i32 s82, s82, s71                                    // 000000003988: 92524752
	s_mul_i32 s61, s60, s61                                    // 00000000398C: 923D3D3C
	s_add_u32 s82, s82, s61                                    // 000000003990: 80523D52
	v_mul_lo_u32 v7, v4, s82                                   // 000000003994: D2850007 0000A504
	v_add_u32_e32 v34, v6, v7                                  // 00000000399C: 68440F06
	v_readlane_b32 s82, v3, 2                                  // 0000000039A0: D2890052 00010503
	s_lshr_b32 s61, s82, 24                                    // 0000000039A8: 8F3D9852
	s_and_b32 s82, s82, 0xffffff                               // 0000000039AC: 8652FF52 00FFFFFF
	s_mul_i32 s82, s82, s71                                    // 0000000039B4: 92524752
	s_mul_i32 s61, s60, s61                                    // 0000000039B8: 923D3D3C
	s_add_u32 s82, s82, s61                                    // 0000000039BC: 80523D52
	v_mul_lo_u32 v6, v5, s82                                   // 0000000039C0: D2850006 0000A505
	v_readlane_b32 s82, v3, 3                                  // 0000000039C8: D2890052 00010703
	s_lshr_b32 s61, s82, 24                                    // 0000000039D0: 8F3D9852
	s_and_b32 s82, s82, 0xffffff                               // 0000000039D4: 8652FF52 00FFFFFF
	s_mul_i32 s82, s82, s71                                    // 0000000039DC: 92524752
	s_mul_i32 s61, s60, s61                                    // 0000000039E0: 923D3D3C
	s_add_u32 s82, s82, s61                                    // 0000000039E4: 80523D52
	v_mul_lo_u32 v7, v4, s82                                   // 0000000039E8: D2850007 0000A504
	v_add_u32_e32 v35, v6, v7                                  // 0000000039F0: 68460F06
	v_and_b32_e32 v4, 31, v0                                   // 0000000039F4: 2608009F
	v_lshrrev_b32_e32 v4, 1, v4                                // 0000000039F8: 20080881
	s_cmp_eq_u32 s88, 0                                        // 0000000039FC: BF068058
	s_cselect_b32 s61, 2, 4                                    // 000000003A00: 853D8482
	v_mul_lo_u32 v4, v4, s61                                   // 000000003A04: D2850004 00007B04
	v_and_b32_e64 v5, v0, 1                                    // 000000003A0C: D1130005 00010300
	v_add_u32_e32 v4, v4, v5                                   // 000000003A14: 68080B04
	v_lshlrev_b32_e32 v4, 2, v4                                // 000000003A18: 24080882
	v_add_u32_e32 v34, v34, v4                                 // 000000003A1C: 68440922
	v_add_u32_e32 v35, v35, v4                                 // 000000003A20: 68460923
	s_waitcnt lgkmcnt(0)                                       // 000000003A24: BF8CC07F
	s_barrier                                                  // 000000003A28: BF8A0000
	ds_read_b32 v40, v21                                       // 000000003A2C: D86C0000 28000015
	ds_read_b32 v41, v21 offset:64                             // 000000003A34: D86C0040 29000015
	s_waitcnt lgkmcnt(0)                                       // 000000003A3C: BF8CC07F
	s_mov_b32 s36, -1                                          // 000000003A40: BEA400C1
	s_mov_b32 s37, -1                                          // 000000003A44: BEA500C1
	v_mov_b32_e32 v7, 0                                        // 000000003A48: 7E0E0280
	s_mov_b64 exec, s[36:37]                                   // 000000003A4C: BEFE0124
	v_mov_b32_e32 v6, v34                                      // 000000003A50: 7E0C0322
	s_mov_b64 s[60:61], 0                                      // 000000003A54: BEBC0180
	v_readlane_b32 s82, v3, 0                                  // 000000003A58: D2890052 00010103
	s_and_b32 s82, s82, 0xffffff                               // 000000003A60: 8652FF52 00FFFFFF
	s_cmp_lt_u32 s82, s66                                      // 000000003A68: BF0A4252
	s_cselect_b32 s20, s36, s60                                // 000000003A6C: 85143C24
	v_readlane_b32 s82, v3, 1                                  // 000000003A70: D2890052 00010303
	s_and_b32 s82, s82, 0xffffff                               // 000000003A78: 8652FF52 00FFFFFF
	s_cmp_lt_u32 s82, s66                                      // 000000003A80: BF0A4252
	s_cselect_b32 s21, s36, s60                                // 000000003A84: 85153C24
	s_mov_b64 exec, s[20:21]                                   // 000000003A88: BEFE0114
	global_atomic_add_f32 v6, v40, s[8:9]                      // 000000003A8C: DD348000 00082806
	s_mov_b64 exec, s[36:37]                                   // 000000003A94: BEFE0124
	v_mov_b32_e32 v6, v35                                      // 000000003A98: 7E0C0323
	s_mov_b64 s[60:61], 0                                      // 000000003A9C: BEBC0180
	v_readlane_b32 s82, v3, 2                                  // 000000003AA0: D2890052 00010503
	s_and_b32 s82, s82, 0xffffff                               // 000000003AA8: 8652FF52 00FFFFFF
	s_cmp_lt_u32 s82, s66                                      // 000000003AB0: BF0A4252
	s_cselect_b32 s20, s36, s60                                // 000000003AB4: 85143C24
	v_readlane_b32 s82, v3, 3                                  // 000000003AB8: D2890052 00010703
	s_and_b32 s82, s82, 0xffffff                               // 000000003AC0: 8652FF52 00FFFFFF
	s_cmp_lt_u32 s82, s66                                      // 000000003AC8: BF0A4252
	s_cselect_b32 s21, s36, s60                                // 000000003ACC: 85153C24
	s_mov_b64 exec, s[20:21]                                   // 000000003AD0: BEFE0114
	global_atomic_add_f32 v6, v41, s[8:9]                      // 000000003AD4: DD348000 00082906
	s_mov_b64 exec, s[36:37]                                   // 000000003ADC: BEFE0124
	ds_write_b64 v20, v[42:43]                                 // 000000003AE0: D89A0000 00002A14
	s_waitcnt lgkmcnt(0)                                       // 000000003AE8: BF8CC07F
	s_barrier                                                  // 000000003AEC: BF8A0000
	ds_read_b32 v42, v21                                       // 000000003AF0: D86C0000 2A000015
	ds_read_b32 v43, v21 offset:64                             // 000000003AF8: D86C0040 2B000015
	s_waitcnt lgkmcnt(0)                                       // 000000003B00: BF8CC07F
	v_mov_b32_e32 v7, 0                                        // 000000003B04: 7E0E0280
	s_mov_b64 exec, s[36:37]                                   // 000000003B08: BEFE0124
	v_mov_b32_e32 v6, v34                                      // 000000003B0C: 7E0C0322
	s_mov_b64 s[60:61], 0                                      // 000000003B10: BEBC0180
	v_readlane_b32 s82, v3, 0                                  // 000000003B14: D2890052 00010103
	s_and_b32 s82, s82, 0xffffff                               // 000000003B1C: 8652FF52 00FFFFFF
	s_cmp_lt_u32 s82, s66                                      // 000000003B24: BF0A4252
	s_cselect_b32 s20, s36, s60                                // 000000003B28: 85143C24
	v_readlane_b32 s82, v3, 1                                  // 000000003B2C: D2890052 00010303
	s_and_b32 s82, s82, 0xffffff                               // 000000003B34: 8652FF52 00FFFFFF
	s_cmp_lt_u32 s82, s66                                      // 000000003B3C: BF0A4252
	s_cselect_b32 s21, s36, s60                                // 000000003B40: 85153C24
	s_mov_b64 exec, s[20:21]                                   // 000000003B44: BEFE0114
	global_atomic_add_f32 v6, v42, s[8:9] offset:8             // 000000003B48: DD348008 00082A06
	s_mov_b64 exec, s[36:37]                                   // 000000003B50: BEFE0124
	v_mov_b32_e32 v6, v35                                      // 000000003B54: 7E0C0323
	s_mov_b64 s[60:61], 0                                      // 000000003B58: BEBC0180
	v_readlane_b32 s82, v3, 2                                  // 000000003B5C: D2890052 00010503
	s_and_b32 s82, s82, 0xffffff                               // 000000003B64: 8652FF52 00FFFFFF
	s_cmp_lt_u32 s82, s66                                      // 000000003B6C: BF0A4252
	s_cselect_b32 s20, s36, s60                                // 000000003B70: 85143C24
	v_readlane_b32 s82, v3, 3                                  // 000000003B74: D2890052 00010703
	s_and_b32 s82, s82, 0xffffff                               // 000000003B7C: 8652FF52 00FFFFFF
	s_cmp_lt_u32 s82, s66                                      // 000000003B84: BF0A4252
	s_cselect_b32 s21, s36, s60                                // 000000003B88: 85153C24
	s_mov_b64 exec, s[20:21]                                   // 000000003B8C: BEFE0114
	global_atomic_add_f32 v6, v43, s[8:9] offset:8             // 000000003B90: DD348008 00082B06
	s_mov_b64 exec, s[36:37]                                   // 000000003B98: BEFE0124
	ds_write_b64 v20, v[44:45]                                 // 000000003B9C: D89A0000 00002C14
	s_waitcnt lgkmcnt(0)                                       // 000000003BA4: BF8CC07F
	s_barrier                                                  // 000000003BA8: BF8A0000
	ds_read_b32 v44, v21                                       // 000000003BAC: D86C0000 2C000015
	ds_read_b32 v45, v21 offset:64                             // 000000003BB4: D86C0040 2D000015
	s_mul_i32 s60, s65, 4                                      // 000000003BBC: 923C8441
	s_add_u32 s8, s60, s8                                      // 000000003BC0: 8008083C
	s_addc_u32 s9, 0, s9                                       // 000000003BC4: 82090980
	s_waitcnt lgkmcnt(0)                                       // 000000003BC8: BF8CC07F
	v_mov_b32_e32 v7, 0                                        // 000000003BCC: 7E0E0280
	s_mov_b64 exec, s[36:37]                                   // 000000003BD0: BEFE0124
	v_mov_b32_e32 v6, v34                                      // 000000003BD4: 7E0C0322
	s_mov_b64 s[60:61], 0                                      // 000000003BD8: BEBC0180
	v_readlane_b32 s82, v3, 0                                  // 000000003BDC: D2890052 00010103
	s_and_b32 s82, s82, 0xffffff                               // 000000003BE4: 8652FF52 00FFFFFF
	s_cmp_lt_u32 s82, s66                                      // 000000003BEC: BF0A4252
	s_cselect_b32 s20, s36, s60                                // 000000003BF0: 85143C24
	v_readlane_b32 s82, v3, 1                                  // 000000003BF4: D2890052 00010303
	s_and_b32 s82, s82, 0xffffff                               // 000000003BFC: 8652FF52 00FFFFFF
	s_cmp_lt_u32 s82, s66                                      // 000000003C04: BF0A4252
	s_cselect_b32 s21, s36, s60                                // 000000003C08: 85153C24
	s_mov_b64 exec, s[20:21]                                   // 000000003C0C: BEFE0114
	global_atomic_add_f32 v6, v44, s[8:9]                      // 000000003C10: DD348000 00082C06
	s_mov_b64 exec, s[36:37]                                   // 000000003C18: BEFE0124
	v_mov_b32_e32 v6, v35                                      // 000000003C1C: 7E0C0323
	s_mov_b64 s[60:61], 0                                      // 000000003C20: BEBC0180
	v_readlane_b32 s82, v3, 2                                  // 000000003C24: D2890052 00010503
	s_and_b32 s82, s82, 0xffffff                               // 000000003C2C: 8652FF52 00FFFFFF
	s_cmp_lt_u32 s82, s66                                      // 000000003C34: BF0A4252
	s_cselect_b32 s20, s36, s60                                // 000000003C38: 85143C24
	v_readlane_b32 s82, v3, 3                                  // 000000003C3C: D2890052 00010703
	s_and_b32 s82, s82, 0xffffff                               // 000000003C44: 8652FF52 00FFFFFF
	s_cmp_lt_u32 s82, s66                                      // 000000003C4C: BF0A4252
	s_cselect_b32 s21, s36, s60                                // 000000003C50: 85153C24
	s_mov_b64 exec, s[20:21]                                   // 000000003C54: BEFE0114
	global_atomic_add_f32 v6, v45, s[8:9]                      // 000000003C58: DD348000 00082D06
	s_mov_b64 exec, s[36:37]                                   // 000000003C60: BEFE0124
	ds_write_b64 v20, v[46:47]                                 // 000000003C64: D89A0000 00002E14
	s_waitcnt lgkmcnt(0)                                       // 000000003C6C: BF8CC07F
	s_barrier                                                  // 000000003C70: BF8A0000
	ds_read_b32 v46, v21                                       // 000000003C74: D86C0000 2E000015
	ds_read_b32 v47, v21 offset:64                             // 000000003C7C: D86C0040 2F000015
	s_waitcnt lgkmcnt(0)                                       // 000000003C84: BF8CC07F
	v_mov_b32_e32 v7, 0                                        // 000000003C88: 7E0E0280
	s_mov_b64 exec, s[36:37]                                   // 000000003C8C: BEFE0124
	v_mov_b32_e32 v6, v34                                      // 000000003C90: 7E0C0322
	s_mov_b64 s[60:61], 0                                      // 000000003C94: BEBC0180
	v_readlane_b32 s82, v3, 0                                  // 000000003C98: D2890052 00010103
	s_and_b32 s82, s82, 0xffffff                               // 000000003CA0: 8652FF52 00FFFFFF
	s_cmp_lt_u32 s82, s66                                      // 000000003CA8: BF0A4252
	s_cselect_b32 s20, s36, s60                                // 000000003CAC: 85143C24
	v_readlane_b32 s82, v3, 1                                  // 000000003CB0: D2890052 00010303
	s_and_b32 s82, s82, 0xffffff                               // 000000003CB8: 8652FF52 00FFFFFF
	s_cmp_lt_u32 s82, s66                                      // 000000003CC0: BF0A4252
	s_cselect_b32 s21, s36, s60                                // 000000003CC4: 85153C24
	s_mov_b64 exec, s[20:21]                                   // 000000003CC8: BEFE0114
	global_atomic_add_f32 v6, v46, s[8:9] offset:8             // 000000003CCC: DD348008 00082E06
	s_mov_b64 exec, s[36:37]                                   // 000000003CD4: BEFE0124
	v_mov_b32_e32 v6, v35                                      // 000000003CD8: 7E0C0323
	s_mov_b64 s[60:61], 0                                      // 000000003CDC: BEBC0180
	v_readlane_b32 s82, v3, 2                                  // 000000003CE0: D2890052 00010503
	s_and_b32 s82, s82, 0xffffff                               // 000000003CE8: 8652FF52 00FFFFFF
	s_cmp_lt_u32 s82, s66                                      // 000000003CF0: BF0A4252
	s_cselect_b32 s20, s36, s60                                // 000000003CF4: 85143C24
	v_readlane_b32 s82, v3, 3                                  // 000000003CF8: D2890052 00010703
	s_and_b32 s82, s82, 0xffffff                               // 000000003D00: 8652FF52 00FFFFFF
	s_cmp_lt_u32 s82, s66                                      // 000000003D08: BF0A4252
	s_cselect_b32 s21, s36, s60                                // 000000003D0C: 85153C24
	s_mov_b64 exec, s[20:21]                                   // 000000003D10: BEFE0114
	global_atomic_add_f32 v6, v47, s[8:9] offset:8             // 000000003D14: DD348008 00082F06
	s_mov_b64 exec, s[36:37]                                   // 000000003D1C: BEFE0124
	s_branch label_0824                                        // 000000003D20: BF820358

0000000000003d24 <label_04CC>:
	s_waitcnt vmcnt(4) lgkmcnt(0)                              // 000000003D24: BF8C0074
	v_mfma_f32_16x16x32_fp8_fp8 v[40:43], a[16:17], a[0:1], v[40:43]// 000000003D28: D3F30028 1CA20110
	buffer_load_dwordx4 a[32:35], v36, s[24:27], 0 offen       // 000000003D30: E05C1000 80862024
	v_mfma_f32_16x16x32_fp8_fp8 v[40:43], a[18:19], a[2:3], v[40:43]// 000000003D38: D3F30028 1CA20512
	v_mfma_f32_16x16x32_fp8_fp8 v[40:43], a[20:21], a[4:5], v[40:43]// 000000003D40: D3F30028 1CA20914
	v_mfma_f32_16x16x32_fp8_fp8 v[40:43], a[22:23], a[6:7], v[40:43]// 000000003D48: D3F30028 1CA20D16
	buffer_load_dwordx4 a[36:39], v36, s[24:27], 0 offen offset:1024// 000000003D50: E05C1400 80862424
	buffer_load_dword v34, s[20:23], 0 offen lds               // 000000003D58: E0511000 80050022
	s_add_u32 m0, 0x100, s50                                   // 000000003D60: 807C32FF 00000100
	buffer_load_dword v35, s[20:23], 0 offen lds               // 000000003D68: E0511000 80050023
	s_add_u32 m0, 0, s48                                       // 000000003D70: 807C3080
	s_waitcnt vmcnt(4)                                         // 000000003D74: BF8C0F74
	s_barrier                                                  // 000000003D78: BF8A0000
	v_mfma_f32_16x16x32_fp8_fp8 v[44:47], a[24:25], a[0:1], v[44:47]// 000000003D7C: D3F3002C 1CB20118
	buffer_load_dwordx4 a[16:19], v36, s[84:87], 0 offen       // 000000003D84: E05C1000 80951024
	v_mfma_f32_16x16x32_fp8_fp8 v[44:47], a[26:27], a[2:3], v[44:47]// 000000003D8C: D3F3002C 1CB2051A
	v_mfma_f32_16x16x32_fp8_fp8 v[44:47], a[28:29], a[4:5], v[44:47]// 000000003D94: D3F3002C 1CB2091C
	ds_read_b128 a[8:11], v2 offset:2176                       // 000000003D9C: DBFE0880 08000002
	ds_read_b128 a[12:15], v2 offset:2240                      // 000000003DA4: DBFE08C0 0C000002
	v_mfma_f32_16x16x32_fp8_fp8 v[44:47], a[30:31], a[6:7], v[44:47]// 000000003DAC: D3F3002C 1CB20D1E
	buffer_load_dwordx4 a[20:23], v36, s[84:87], 0 offen offset:1024// 000000003DB4: E05C1400 80951424
	s_add_u32 s60, 0x180, s80                                  // 000000003DBC: 803C50FF 00000180
	s_cmp_lt_u32 s60, s81                                      // 000000003DC4: BF0A513C
	s_cselect_b32 s57, s57, 0                                  // 000000003DC8: 85398039
	s_add_u32 s60, 0x100, s80                                  // 000000003DCC: 803C50FF 00000100
	s_cmp_lt_u32 s60, s81                                      // 000000003DD4: BF0A513C
	s_cselect_b32 s58, s58, 0                                  // 000000003DD8: 853A803A
	s_add_u32 s60, 0x100, s80                                  // 000000003DDC: 803C50FF 00000100
	s_cmp_lt_u32 s60, s81                                      // 000000003DE4: BF0A513C
	s_cselect_b32 s83, s83, 0                                  // 000000003DE8: 85538053
	s_add_u32 s20, s57, s20                                    // 000000003DEC: 80141439
	s_addc_u32 s21, 0, s21                                     // 000000003DF0: 82151580
	s_add_u32 s84, s83, s84                                    // 000000003DF4: 80545453
	s_addc_u32 s85, 0, s85                                     // 000000003DF8: 82555580
	s_add_u32 s24, s58, s24                                    // 000000003DFC: 8018183A
	s_addc_u32 s25, 0, s25                                     // 000000003E00: 82191980
	s_addk_i32 s80, 0x80                                       // 000000003E04: B7500080
	s_cmp_lt_i32 s80, s81                                      // 000000003E08: BF045150
	s_cbranch_scc0 label_062F                                  // 000000003E0C: BF840128
	s_waitcnt vmcnt(4) lgkmcnt(0)                              // 000000003E10: BF8C0074
	v_mfma_f32_16x16x32_fp8_fp8 v[40:43], a[32:33], a[8:9], v[40:43]// 000000003E14: D3F30028 1CA21120
	buffer_load_dwordx4 a[24:27], v36, s[24:27], 0 offen       // 000000003E1C: E05C1000 80861824
	v_mfma_f32_16x16x32_fp8_fp8 v[40:43], a[34:35], a[10:11], v[40:43]// 000000003E24: D3F30028 1CA21522
	v_mfma_f32_16x16x32_fp8_fp8 v[40:43], a[36:37], a[12:13], v[40:43]// 000000003E2C: D3F30028 1CA21924
	v_mfma_f32_16x16x32_fp8_fp8 v[40:43], a[38:39], a[14:15], v[40:43]// 000000003E34: D3F30028 1CA21D26
	buffer_load_dwordx4 a[28:31], v36, s[24:27], 0 offen offset:1024// 000000003E3C: E05C1400 80861C24
	buffer_load_dword v34, s[20:23], 0 offen lds               // 000000003E44: E0511000 80050022
	s_add_u32 m0, 0x100, s48                                   // 000000003E4C: 807C30FF 00000100
	buffer_load_dword v35, s[20:23], 0 offen lds               // 000000003E54: E0511000 80050023
	s_add_u32 m0, 0, s49                                       // 000000003E5C: 807C3180
	s_waitcnt vmcnt(4)                                         // 000000003E60: BF8C0F74
	s_barrier                                                  // 000000003E64: BF8A0000
	v_mfma_f32_16x16x32_fp8_fp8 v[44:47], a[16:17], a[8:9], v[44:47]// 000000003E68: D3F3002C 1CB21110
	buffer_load_dwordx4 a[32:35], v36, s[84:87], 0 offen       // 000000003E70: E05C1000 80952024
	v_mfma_f32_16x16x32_fp8_fp8 v[44:47], a[18:19], a[10:11], v[44:47]// 000000003E78: D3F3002C 1CB21512
	v_mfma_f32_16x16x32_fp8_fp8 v[44:47], a[20:21], a[12:13], v[44:47]// 000000003E80: D3F3002C 1CB21914
	ds_read_b128 a[0:3], v2 offset:4352                        // 000000003E88: DBFE1100 00000002
	ds_read_b128 a[4:7], v2 offset:4416                        // 000000003E90: DBFE1140 04000002
	v_mfma_f32_16x16x32_fp8_fp8 v[44:47], a[22:23], a[14:15], v[44:47]// 000000003E98: D3F3002C 1CB21D16
	buffer_load_dwordx4 a[36:39], v36, s[84:87], 0 offen offset:1024// 000000003EA0: E05C1400 80952424
	s_add_u32 s60, 0x180, s80                                  // 000000003EA8: 803C50FF 00000180
	s_cmp_lt_u32 s60, s81                                      // 000000003EB0: BF0A513C
	s_cselect_b32 s57, s57, 0                                  // 000000003EB4: 85398039
	s_add_u32 s60, 0x100, s80                                  // 000000003EB8: 803C50FF 00000100
	s_cmp_lt_u32 s60, s81                                      // 000000003EC0: BF0A513C
	s_cselect_b32 s58, s58, 0                                  // 000000003EC4: 853A803A
	s_add_u32 s60, 0x100, s80                                  // 000000003EC8: 803C50FF 00000100
	s_cmp_lt_u32 s60, s81                                      // 000000003ED0: BF0A513C
	s_cselect_b32 s83, s83, 0                                  // 000000003ED4: 85538053
	s_add_u32 s20, s57, s20                                    // 000000003ED8: 80141439
	s_addc_u32 s21, 0, s21                                     // 000000003EDC: 82151580
	s_add_u32 s84, s83, s84                                    // 000000003EE0: 80545453
	s_addc_u32 s85, 0, s85                                     // 000000003EE4: 82555580
	s_add_u32 s24, s58, s24                                    // 000000003EE8: 8018183A
	s_addc_u32 s25, 0, s25                                     // 000000003EEC: 82191980
	s_addk_i32 s80, 0x80                                       // 000000003EF0: B7500080
	s_cmp_lt_i32 s80, s81                                      // 000000003EF4: BF045150
	s_cbranch_scc0 label_062F                                  // 000000003EF8: BF8400ED
	s_waitcnt vmcnt(4) lgkmcnt(0)                              // 000000003EFC: BF8C0074
	v_mfma_f32_16x16x32_fp8_fp8 v[40:43], a[24:25], a[0:1], v[40:43]// 000000003F00: D3F30028 1CA20118
	buffer_load_dwordx4 a[16:19], v36, s[24:27], 0 offen       // 000000003F08: E05C1000 80861024
	v_mfma_f32_16x16x32_fp8_fp8 v[40:43], a[26:27], a[2:3], v[40:43]// 000000003F10: D3F30028 1CA2051A
	v_mfma_f32_16x16x32_fp8_fp8 v[40:43], a[28:29], a[4:5], v[40:43]// 000000003F18: D3F30028 1CA2091C
	v_mfma_f32_16x16x32_fp8_fp8 v[40:43], a[30:31], a[6:7], v[40:43]// 000000003F20: D3F30028 1CA20D1E
	buffer_load_dwordx4 a[20:23], v36, s[24:27], 0 offen offset:1024// 000000003F28: E05C1400 80861424
	buffer_load_dword v34, s[20:23], 0 offen lds               // 000000003F30: E0511000 80050022
	s_add_u32 m0, 0x100, s49                                   // 000000003F38: 807C31FF 00000100
	buffer_load_dword v35, s[20:23], 0 offen lds               // 000000003F40: E0511000 80050023
	s_add_u32 m0, 0, s50                                       // 000000003F48: 807C3280
	s_waitcnt vmcnt(4)                                         // 000000003F4C: BF8C0F74
	s_barrier                                                  // 000000003F50: BF8A0000
	v_mfma_f32_16x16x32_fp8_fp8 v[44:47], a[32:33], a[0:1], v[44:47]// 000000003F54: D3F3002C 1CB20120
	buffer_load_dwordx4 a[24:27], v36, s[84:87], 0 offen       // 000000003F5C: E05C1000 80951824
	v_mfma_f32_16x16x32_fp8_fp8 v[44:47], a[34:35], a[2:3], v[44:47]// 000000003F64: D3F3002C 1CB20522
	v_mfma_f32_16x16x32_fp8_fp8 v[44:47], a[36:37], a[4:5], v[44:47]// 000000003F6C: D3F3002C 1CB20924
	ds_read_b128 a[8:11], v2                                   // 000000003F74: DBFE0000 08000002
	ds_read_b128 a[12:15], v2 offset:64                        // 000000003F7C: DBFE0040 0C000002
	v_mfma_f32_16x16x32_fp8_fp8 v[44:47], a[38:39], a[6:7], v[44:47]// 000000003F84: D3F3002C 1CB20D26
	buffer_load_dwordx4 a[28:31], v36, s[84:87], 0 offen offset:1024// 000000003F8C: E05C1400 80951C24
	s_add_u32 s60, 0x180, s80                                  // 000000003F94: 803C50FF 00000180
	s_cmp_lt_u32 s60, s81                                      // 000000003F9C: BF0A513C
	s_cselect_b32 s57, s57, 0                                  // 000000003FA0: 85398039
	s_add_u32 s60, 0x100, s80                                  // 000000003FA4: 803C50FF 00000100
	s_cmp_lt_u32 s60, s81                                      // 000000003FAC: BF0A513C
	s_cselect_b32 s58, s58, 0                                  // 000000003FB0: 853A803A
	s_add_u32 s60, 0x100, s80                                  // 000000003FB4: 803C50FF 00000100
	s_cmp_lt_u32 s60, s81                                      // 000000003FBC: BF0A513C
	s_cselect_b32 s83, s83, 0                                  // 000000003FC0: 85538053
	s_add_u32 s20, s57, s20                                    // 000000003FC4: 80141439
	s_addc_u32 s21, 0, s21                                     // 000000003FC8: 82151580
	s_add_u32 s84, s83, s84                                    // 000000003FCC: 80545453
	s_addc_u32 s85, 0, s85                                     // 000000003FD0: 82555580
	s_add_u32 s24, s58, s24                                    // 000000003FD4: 8018183A
	s_addc_u32 s25, 0, s25                                     // 000000003FD8: 82191980
	s_addk_i32 s80, 0x80                                       // 000000003FDC: B7500080
	s_cmp_lt_i32 s80, s81                                      // 000000003FE0: BF045150
	s_cbranch_scc0 label_062F                                  // 000000003FE4: BF8400B2
	s_waitcnt vmcnt(4) lgkmcnt(0)                              // 000000003FE8: BF8C0074
	v_mfma_f32_16x16x32_fp8_fp8 v[40:43], a[16:17], a[8:9], v[40:43]// 000000003FEC: D3F30028 1CA21110
	buffer_load_dwordx4 a[32:35], v36, s[24:27], 0 offen       // 000000003FF4: E05C1000 80862024
	v_mfma_f32_16x16x32_fp8_fp8 v[40:43], a[18:19], a[10:11], v[40:43]// 000000003FFC: D3F30028 1CA21512
	v_mfma_f32_16x16x32_fp8_fp8 v[40:43], a[20:21], a[12:13], v[40:43]// 000000004004: D3F30028 1CA21914
	v_mfma_f32_16x16x32_fp8_fp8 v[40:43], a[22:23], a[14:15], v[40:43]// 00000000400C: D3F30028 1CA21D16
	buffer_load_dwordx4 a[36:39], v36, s[24:27], 0 offen offset:1024// 000000004014: E05C1400 80862424
	buffer_load_dword v34, s[20:23], 0 offen lds               // 00000000401C: E0511000 80050022
	s_add_u32 m0, 0x100, s50                                   // 000000004024: 807C32FF 00000100
	buffer_load_dword v35, s[20:23], 0 offen lds               // 00000000402C: E0511000 80050023
	s_add_u32 m0, 0, s48                                       // 000000004034: 807C3080
	s_waitcnt vmcnt(4)                                         // 000000004038: BF8C0F74
	s_barrier                                                  // 00000000403C: BF8A0000
	v_mfma_f32_16x16x32_fp8_fp8 v[44:47], a[24:25], a[8:9], v[44:47]// 000000004040: D3F3002C 1CB21118
	buffer_load_dwordx4 a[16:19], v36, s[84:87], 0 offen       // 000000004048: E05C1000 80951024
	v_mfma_f32_16x16x32_fp8_fp8 v[44:47], a[26:27], a[10:11], v[44:47]// 000000004050: D3F3002C 1CB2151A
	v_mfma_f32_16x16x32_fp8_fp8 v[44:47], a[28:29], a[12:13], v[44:47]// 000000004058: D3F3002C 1CB2191C
	ds_read_b128 a[0:3], v2 offset:2176                        // 000000004060: DBFE0880 00000002
	ds_read_b128 a[4:7], v2 offset:2240                        // 000000004068: DBFE08C0 04000002
	v_mfma_f32_16x16x32_fp8_fp8 v[44:47], a[30:31], a[14:15], v[44:47]// 000000004070: D3F3002C 1CB21D1E
	buffer_load_dwordx4 a[20:23], v36, s[84:87], 0 offen offset:1024// 000000004078: E05C1400 80951424
	s_add_u32 s60, 0x180, s80                                  // 000000004080: 803C50FF 00000180
	s_cmp_lt_u32 s60, s81                                      // 000000004088: BF0A513C
	s_cselect_b32 s57, s57, 0                                  // 00000000408C: 85398039
	s_add_u32 s60, 0x100, s80                                  // 000000004090: 803C50FF 00000100
	s_cmp_lt_u32 s60, s81                                      // 000000004098: BF0A513C
	s_cselect_b32 s58, s58, 0                                  // 00000000409C: 853A803A
	s_add_u32 s60, 0x100, s80                                  // 0000000040A0: 803C50FF 00000100
	s_cmp_lt_u32 s60, s81                                      // 0000000040A8: BF0A513C
	s_cselect_b32 s83, s83, 0                                  // 0000000040AC: 85538053
	s_add_u32 s20, s57, s20                                    // 0000000040B0: 80141439
	s_addc_u32 s21, 0, s21                                     // 0000000040B4: 82151580
	s_add_u32 s84, s83, s84                                    // 0000000040B8: 80545453
	s_addc_u32 s85, 0, s85                                     // 0000000040BC: 82555580
	s_add_u32 s24, s58, s24                                    // 0000000040C0: 8018183A
	s_addc_u32 s25, 0, s25                                     // 0000000040C4: 82191980
	s_addk_i32 s80, 0x80                                       // 0000000040C8: B7500080
	s_cmp_lt_i32 s80, s81                                      // 0000000040CC: BF045150
	s_cbranch_scc0 label_062F                                  // 0000000040D0: BF840077
	s_waitcnt vmcnt(4) lgkmcnt(0)                              // 0000000040D4: BF8C0074
	v_mfma_f32_16x16x32_fp8_fp8 v[40:43], a[32:33], a[0:1], v[40:43]// 0000000040D8: D3F30028 1CA20120
	buffer_load_dwordx4 a[24:27], v36, s[24:27], 0 offen       // 0000000040E0: E05C1000 80861824
	v_mfma_f32_16x16x32_fp8_fp8 v[40:43], a[34:35], a[2:3], v[40:43]// 0000000040E8: D3F30028 1CA20522
	v_mfma_f32_16x16x32_fp8_fp8 v[40:43], a[36:37], a[4:5], v[40:43]// 0000000040F0: D3F30028 1CA20924
	v_mfma_f32_16x16x32_fp8_fp8 v[40:43], a[38:39], a[6:7], v[40:43]// 0000000040F8: D3F30028 1CA20D26
	buffer_load_dwordx4 a[28:31], v36, s[24:27], 0 offen offset:1024// 000000004100: E05C1400 80861C24
	buffer_load_dword v34, s[20:23], 0 offen lds               // 000000004108: E0511000 80050022
	s_add_u32 m0, 0x100, s48                                   // 000000004110: 807C30FF 00000100
	buffer_load_dword v35, s[20:23], 0 offen lds               // 000000004118: E0511000 80050023
	s_add_u32 m0, 0, s49                                       // 000000004120: 807C3180
	s_waitcnt vmcnt(4)                                         // 000000004124: BF8C0F74
	s_barrier                                                  // 000000004128: BF8A0000
	v_mfma_f32_16x16x32_fp8_fp8 v[44:47], a[16:17], a[0:1], v[44:47]// 00000000412C: D3F3002C 1CB20110
	buffer_load_dwordx4 a[32:35], v36, s[84:87], 0 offen       // 000000004134: E05C1000 80952024
	v_mfma_f32_16x16x32_fp8_fp8 v[44:47], a[18:19], a[2:3], v[44:47]// 00000000413C: D3F3002C 1CB20512
	v_mfma_f32_16x16x32_fp8_fp8 v[44:47], a[20:21], a[4:5], v[44:47]// 000000004144: D3F3002C 1CB20914
	ds_read_b128 a[8:11], v2 offset:4352                       // 00000000414C: DBFE1100 08000002
	ds_read_b128 a[12:15], v2 offset:4416                      // 000000004154: DBFE1140 0C000002
	v_mfma_f32_16x16x32_fp8_fp8 v[44:47], a[22:23], a[6:7], v[44:47]// 00000000415C: D3F3002C 1CB20D16
	buffer_load_dwordx4 a[36:39], v36, s[84:87], 0 offen offset:1024// 000000004164: E05C1400 80952424
	s_add_u32 s60, 0x180, s80                                  // 00000000416C: 803C50FF 00000180
	s_cmp_lt_u32 s60, s81                                      // 000000004174: BF0A513C
	s_cselect_b32 s57, s57, 0                                  // 000000004178: 85398039
	s_add_u32 s60, 0x100, s80                                  // 00000000417C: 803C50FF 00000100
	s_cmp_lt_u32 s60, s81                                      // 000000004184: BF0A513C
	s_cselect_b32 s58, s58, 0                                  // 000000004188: 853A803A
	s_add_u32 s60, 0x100, s80                                  // 00000000418C: 803C50FF 00000100
	s_cmp_lt_u32 s60, s81                                      // 000000004194: BF0A513C
	s_cselect_b32 s83, s83, 0                                  // 000000004198: 85538053
	s_add_u32 s20, s57, s20                                    // 00000000419C: 80141439
	s_addc_u32 s21, 0, s21                                     // 0000000041A0: 82151580
	s_add_u32 s84, s83, s84                                    // 0000000041A4: 80545453
	s_addc_u32 s85, 0, s85                                     // 0000000041A8: 82555580
	s_add_u32 s24, s58, s24                                    // 0000000041AC: 8018183A
	s_addc_u32 s25, 0, s25                                     // 0000000041B0: 82191980
	s_addk_i32 s80, 0x80                                       // 0000000041B4: B7500080
	s_cmp_lt_i32 s80, s81                                      // 0000000041B8: BF045150
	s_cbranch_scc0 label_062F                                  // 0000000041BC: BF84003C
	s_waitcnt vmcnt(4) lgkmcnt(0)                              // 0000000041C0: BF8C0074
	v_mfma_f32_16x16x32_fp8_fp8 v[40:43], a[24:25], a[8:9], v[40:43]// 0000000041C4: D3F30028 1CA21118
	buffer_load_dwordx4 a[16:19], v36, s[24:27], 0 offen       // 0000000041CC: E05C1000 80861024
	v_mfma_f32_16x16x32_fp8_fp8 v[40:43], a[26:27], a[10:11], v[40:43]// 0000000041D4: D3F30028 1CA2151A
	v_mfma_f32_16x16x32_fp8_fp8 v[40:43], a[28:29], a[12:13], v[40:43]// 0000000041DC: D3F30028 1CA2191C
	v_mfma_f32_16x16x32_fp8_fp8 v[40:43], a[30:31], a[14:15], v[40:43]// 0000000041E4: D3F30028 1CA21D1E
	buffer_load_dwordx4 a[20:23], v36, s[24:27], 0 offen offset:1024// 0000000041EC: E05C1400 80861424
	buffer_load_dword v34, s[20:23], 0 offen lds               // 0000000041F4: E0511000 80050022
	s_add_u32 m0, 0x100, s49                                   // 0000000041FC: 807C31FF 00000100
	buffer_load_dword v35, s[20:23], 0 offen lds               // 000000004204: E0511000 80050023
	s_add_u32 m0, 0, s50                                       // 00000000420C: 807C3280
	s_waitcnt vmcnt(4)                                         // 000000004210: BF8C0F74
	s_barrier                                                  // 000000004214: BF8A0000
	v_mfma_f32_16x16x32_fp8_fp8 v[44:47], a[32:33], a[8:9], v[44:47]// 000000004218: D3F3002C 1CB21120
	buffer_load_dwordx4 a[24:27], v36, s[84:87], 0 offen       // 000000004220: E05C1000 80951824
	v_mfma_f32_16x16x32_fp8_fp8 v[44:47], a[34:35], a[10:11], v[44:47]// 000000004228: D3F3002C 1CB21522
	v_mfma_f32_16x16x32_fp8_fp8 v[44:47], a[36:37], a[12:13], v[44:47]// 000000004230: D3F3002C 1CB21924
	ds_read_b128 a[0:3], v2                                    // 000000004238: DBFE0000 00000002
	ds_read_b128 a[4:7], v2 offset:64                          // 000000004240: DBFE0040 04000002
	v_mfma_f32_16x16x32_fp8_fp8 v[44:47], a[38:39], a[14:15], v[44:47]// 000000004248: D3F3002C 1CB21D26
	buffer_load_dwordx4 a[28:31], v36, s[84:87], 0 offen offset:1024// 000000004250: E05C1400 80951C24
	s_add_u32 s60, 0x180, s80                                  // 000000004258: 803C50FF 00000180
	s_cmp_lt_u32 s60, s81                                      // 000000004260: BF0A513C
	s_cselect_b32 s57, s57, 0                                  // 000000004264: 85398039
	s_add_u32 s60, 0x100, s80                                  // 000000004268: 803C50FF 00000100
	s_cmp_lt_u32 s60, s81                                      // 000000004270: BF0A513C
	s_cselect_b32 s58, s58, 0                                  // 000000004274: 853A803A
	s_add_u32 s60, 0x100, s80                                  // 000000004278: 803C50FF 00000100
	s_cmp_lt_u32 s60, s81                                      // 000000004280: BF0A513C
	s_cselect_b32 s83, s83, 0                                  // 000000004284: 85538053
	s_add_u32 s20, s57, s20                                    // 000000004288: 80141439
	s_addc_u32 s21, 0, s21                                     // 00000000428C: 82151580
	s_add_u32 s84, s83, s84                                    // 000000004290: 80545453
	s_addc_u32 s85, 0, s85                                     // 000000004294: 82555580
	s_add_u32 s24, s58, s24                                    // 000000004298: 8018183A
	s_addc_u32 s25, 0, s25                                     // 00000000429C: 82191980
	s_addk_i32 s80, 0x80                                       // 0000000042A0: B7500080
	s_cmp_lt_i32 s80, s81                                      // 0000000042A4: BF045150
	s_cbranch_scc0 label_062F                                  // 0000000042A8: BF840001
	s_branch label_04CC                                        // 0000000042AC: BF82FE9D

00000000000042b0 <label_062F>:
	v_mul_f32_dpp v40, v24, v40 row_newbcast:0 row_mask:0xf bank_mask:0xf// 0000000042B0: 0A5050FA FF015018
	v_mul_f32_dpp v41, v24, v41 row_newbcast:1 row_mask:0xf bank_mask:0xf// 0000000042B8: 0A5252FA FF015118
	v_mul_f32_dpp v42, v24, v42 row_newbcast:2 row_mask:0xf bank_mask:0xf// 0000000042C0: 0A5454FA FF015218
	v_mul_f32_dpp v43, v24, v43 row_newbcast:3 row_mask:0xf bank_mask:0xf// 0000000042C8: 0A5656FA FF015318
	v_mul_f32_dpp v44, v27, v44 row_newbcast:0 row_mask:0xf bank_mask:0xf// 0000000042D0: 0A5858FA FF01501B
	v_mul_f32_dpp v45, v27, v45 row_newbcast:1 row_mask:0xf bank_mask:0xf// 0000000042D8: 0A5A5AFA FF01511B
	v_mul_f32_dpp v46, v27, v46 row_newbcast:2 row_mask:0xf bank_mask:0xf// 0000000042E0: 0A5C5CFA FF01521B
	v_mul_f32_dpp v47, v27, v47 row_newbcast:3 row_mask:0xf bank_mask:0xf// 0000000042E8: 0A5E5EFA FF01531B
	v_mov_b32_e32 v4, v31                                      // 0000000042F0: 7E08031F
	v_mov_b32_e32 v5, v4                                       // 0000000042F4: 7E0A0304
	v_pk_mul_f32 v[40:41], v[4:5], v[40:41]                    // 0000000042F8: D3B14028 18025104
	v_pk_mul_f32 v[44:45], v[4:5], v[44:45]                    // 000000004300: D3B1402C 18025904
	v_pk_mul_f32 v[42:43], v[4:5], v[42:43]                    // 000000004308: D3B1402A 18025504
	v_pk_mul_f32 v[46:47], v[4:5], v[46:47]                    // 000000004310: D3B1402E 18025D04
	s_cmp_eq_u32 s88, 0                                        // 000000004318: BF068058
	s_cbranch_scc0 label_0726                                  // 00000000431C: BF8400DB
	s_cmp_eq_u32 s89, 0                                        // 000000004320: BF068059
	s_cbranch_scc1 label_067A                                  // 000000004324: BF85002D
	v_mov_b32_e32 v8, v1                                       // 000000004328: 7E100301
	v_mov_b32_e32 v9, v1                                       // 00000000432C: 7E120301
	s_mov_b32 s60, s6                                          // 000000004330: BEBC0006
	s_mov_b32 s61, s6                                          // 000000004334: BEBD0006
	v_pk_mul_f32 v[4:5], v[40:41], v[40:41]                    // 000000004338: D3B14004 18025128
	v_pk_mul_f32 v[6:7], v[42:43], v[42:43]                    // 000000004340: D3B14006 1802552A
	v_pk_fma_f32 v[4:5], v[4:5], s[78:79], v[8:9]              // 000000004348: D3B04004 1C209D04
	v_pk_fma_f32 v[6:7], v[6:7], s[78:79], v[8:9]              // 000000004350: D3B04006 1C209D06
	v_pk_mul_f32 v[4:5], v[4:5], v[40:41]                      // 000000004358: D3B14004 18025104
	v_pk_mul_f32 v[6:7], v[6:7], v[42:43]                      // 000000004360: D3B14006 18025506
	v_pk_mul_f32 v[4:5], v[4:5], s[60:61]                      // 000000004368: D3B14004 18007904
	v_pk_mul_f32 v[6:7], v[6:7], s[60:61]                      // 000000004370: D3B14006 18007906
	v_exp_f32_e32 v4, v4                                       // 000000004378: 7E084104
	v_exp_f32_e32 v5, v5                                       // 00000000437C: 7E0A4105
	v_exp_f32_e32 v6, v6                                       // 000000004380: 7E0C4106
	v_exp_f32_e32 v7, v7                                       // 000000004384: 7E0E4107
	v_add_f32_e64 v4, v4, 1.0                                  // 000000004388: D1010004 0001E504
	v_add_f32_e64 v5, v5, 1.0                                  // 000000004390: D1010005 0001E505
	v_add_f32_e64 v6, v6, 1.0                                  // 000000004398: D1010006 0001E506
	v_add_f32_e64 v7, v7, 1.0                                  // 0000000043A0: D1010007 0001E507
	v_rcp_f32_e32 v4, v4                                       // 0000000043A8: 7E084504
	v_rcp_f32_e32 v5, v5                                       // 0000000043AC: 7E0A4505
	v_rcp_f32_e32 v6, v6                                       // 0000000043B0: 7E0C4506
	v_rcp_f32_e32 v7, v7                                       // 0000000043B4: 7E0E4507
	v_mul_f32_e32 v40, v40, v4                                 // 0000000043B8: 0A500928
	v_mul_f32_e32 v41, v41, v5                                 // 0000000043BC: 0A520B29
	v_mul_f32_e32 v42, v42, v6                                 // 0000000043C0: 0A540D2A
	v_mul_f32_e32 v43, v43, v7                                 // 0000000043C4: 0A560F2B
	v_mul_f32_e32 v40, v40, v44                                // 0000000043C8: 0A505928
	v_mul_f32_e32 v41, v41, v45                                // 0000000043CC: 0A525B29
	v_mul_f32_e32 v42, v42, v46                                // 0000000043D0: 0A545D2A
	v_mul_f32_e32 v43, v43, v47                                // 0000000043D4: 0A565F2B
	s_branch label_069A                                        // 0000000043D8: BF820020

00000000000043dc <label_067A>:
	v_mul_f32_e64 v4, -v40, s6                                 // 0000000043DC: D1050004 20000D28
	v_mul_f32_e64 v5, -v41, s6                                 // 0000000043E4: D1050005 20000D29
	v_mul_f32_e64 v6, -v42, s6                                 // 0000000043EC: D1050006 20000D2A
	v_mul_f32_e64 v7, -v43, s6                                 // 0000000043F4: D1050007 20000D2B
	v_exp_f32_e32 v4, v4                                       // 0000000043FC: 7E084104
	v_exp_f32_e32 v5, v5                                       // 000000004400: 7E0A4105
	v_exp_f32_e32 v6, v6                                       // 000000004404: 7E0C4106
	v_exp_f32_e32 v7, v7                                       // 000000004408: 7E0E4107
	v_add_f32_e64 v4, v4, 1.0                                  // 00000000440C: D1010004 0001E504
	v_add_f32_e64 v5, v5, 1.0                                  // 000000004414: D1010005 0001E505
	v_add_f32_e64 v6, v6, 1.0                                  // 00000000441C: D1010006 0001E506
	v_add_f32_e64 v7, v7, 1.0                                  // 000000004424: D1010007 0001E507
	v_rcp_f32_e32 v4, v4                                       // 00000000442C: 7E084504
	v_rcp_f32_e32 v5, v5                                       // 000000004430: 7E0A4505
	v_rcp_f32_e32 v6, v6                                       // 000000004434: 7E0C4506
	v_rcp_f32_e32 v7, v7                                       // 000000004438: 7E0E4507
	v_mul_f32_e32 v40, v40, v4                                 // 00000000443C: 0A500928
	v_mul_f32_e32 v41, v41, v5                                 // 000000004440: 0A520B29
	v_mul_f32_e32 v42, v42, v6                                 // 000000004444: 0A540D2A
	v_mul_f32_e32 v43, v43, v7                                 // 000000004448: 0A560F2B
	v_mul_f32_e32 v40, v40, v44                                // 00000000444C: 0A505928
	v_mul_f32_e32 v41, v41, v45                                // 000000004450: 0A525B29
	v_mul_f32_e32 v42, v42, v46                                // 000000004454: 0A545D2A
	v_mul_f32_e32 v43, v43, v47                                // 000000004458: 0A565F2B

000000000000445c <label_069A>:
	v_cmp_u_f32_e64 s[46:47], v40, v40                         // 00000000445C: D048002E 00025128
	v_add3_u32 v16, v40, v19, 1                                // 000000004464: D1FF0010 02062728
	v_cndmask_b32_e64 v4, v16, v18, s[46:47]                   // 00000000446C: D1000004 00BA2510
	v_cmp_u_f32_e64 s[46:47], v41, v41                         // 000000004474: D048002E 00025329
	v_add3_u32 v16, v41, v19, 1                                // 00000000447C: D1FF0010 02062729
	v_cndmask_b32_e64 v5, v16, v18, s[46:47]                   // 000000004484: D1000005 00BA2510
	v_perm_b32 v40, v5, v4, s52                                // 00000000448C: D1ED0028 00D20905
	v_cmp_u_f32_e64 s[46:47], v42, v42                         // 000000004494: D048002E 0002552A
	v_add3_u32 v16, v42, v19, 1                                // 00000000449C: D1FF0010 0206272A
	v_cndmask_b32_e64 v4, v16, v18, s[46:47]                   // 0000000044A4: D1000004 00BA2510
	v_cmp_u_f32_e64 s[46:47], v43, v43                         // 0000000044AC: D048002E 0002572B
	v_add3_u32 v16, v43, v19, 1                                // 0000000044B4: D1FF0010 0206272B
	v_cndmask_b32_e64 v5, v16, v18, s[46:47]                   // 0000000044BC: D1000005 00BA2510
	v_perm_b32 v41, v5, v4, s52                                // 0000000044C4: D1ED0029 00D20905
	ds_write_b64 v20, v[40:41]                                 // 0000000044CC: D89A0000 00002814
	v_lshrrev_b32_e32 v4, 5, v0                                // 0000000044D4: 20080085
	v_xor_b32_e32 v5, 1, v4                                    // 0000000044D8: 2A0A0881
	s_mul_i32 s60, s65, 2                                      // 0000000044DC: 923C8241
	s_cmp_eq_u32 s88, 0                                        // 0000000044E0: BF068058
	s_cselect_b32 s61, 1, 4                                    // 0000000044E4: 853D8481
	s_mul_i32 s60, s61, s60                                    // 0000000044E8: 923C3C3D
	v_readlane_b32 s82, v3, 0                                  // 0000000044EC: D2890052 00010103
	s_lshr_b32 s61, s82, 24                                    // 0000000044F4: 8F3D9852
	s_and_b32 s82, s82, 0xffffff                               // 0000000044F8: 8652FF52 00FFFFFF
	s_mul_i32 s82, s82, s71                                    // 000000004500: 92524752
	s_mul_i32 s61, s60, s61                                    // 000000004504: 923D3D3C
	s_add_u32 s82, s82, s61                                    // 000000004508: 80523D52
	v_mul_lo_u32 v6, v5, s82                                   // 00000000450C: D2850006 0000A505
	v_readlane_b32 s82, v3, 1                                  // 000000004514: D2890052 00010303
	s_lshr_b32 s61, s82, 24                                    // 00000000451C: 8F3D9852
	s_and_b32 s82, s82, 0xffffff                               // 000000004520: 8652FF52 00FFFFFF
	s_mul_i32 s82, s82, s71                                    // 000000004528: 92524752
	s_mul_i32 s61, s60, s61                                    // 00000000452C: 923D3D3C
	s_add_u32 s82, s82, s61                                    // 000000004530: 80523D52
	v_mul_lo_u32 v7, v4, s82                                   // 000000004534: D2850007 0000A504
	v_add_u32_e32 v34, v6, v7                                  // 00000000453C: 68440F06
	v_readlane_b32 s82, v3, 2                                  // 000000004540: D2890052 00010503
	s_lshr_b32 s61, s82, 24                                    // 000000004548: 8F3D9852
	s_and_b32 s82, s82, 0xffffff                               // 00000000454C: 8652FF52 00FFFFFF
	s_mul_i32 s82, s82, s71                                    // 000000004554: 92524752
	s_mul_i32 s61, s60, s61                                    // 000000004558: 923D3D3C
	s_add_u32 s82, s82, s61                                    // 00000000455C: 80523D52
	v_mul_lo_u32 v6, v5, s82                                   // 000000004560: D2850006 0000A505
	v_readlane_b32 s82, v3, 3                                  // 000000004568: D2890052 00010703
	s_lshr_b32 s61, s82, 24                                    // 000000004570: 8F3D9852
	s_and_b32 s82, s82, 0xffffff                               // 000000004574: 8652FF52 00FFFFFF
	s_mul_i32 s82, s82, s71                                    // 00000000457C: 92524752
	s_mul_i32 s61, s60, s61                                    // 000000004580: 923D3D3C
	s_add_u32 s82, s82, s61                                    // 000000004584: 80523D52
	v_mul_lo_u32 v7, v4, s82                                   // 000000004588: D2850007 0000A504
	v_add_u32_e32 v35, v6, v7                                  // 000000004590: 68460F06
	v_and_b32_e32 v4, 31, v0                                   // 000000004594: 2608009F
	v_lshrrev_b32_e32 v4, 1, v4                                // 000000004598: 20080881
	s_cmp_eq_u32 s88, 0                                        // 00000000459C: BF068058
	s_cselect_b32 s61, 2, 4                                    // 0000000045A0: 853D8482
	v_mul_lo_u32 v4, v4, s61                                   // 0000000045A4: D2850004 00007B04
	v_and_b32_e64 v5, v0, 1                                    // 0000000045AC: D1130005 00010300
	v_add_u32_e32 v4, v4, v5                                   // 0000000045B4: 68080B04
	v_lshlrev_b32_e32 v4, 2, v4                                // 0000000045B8: 24080882
	v_add_u32_e32 v34, v34, v4                                 // 0000000045BC: 68440922
	v_add_u32_e32 v35, v35, v4                                 // 0000000045C0: 68460923
	s_waitcnt lgkmcnt(0)                                       // 0000000045C4: BF8CC07F
	s_barrier                                                  // 0000000045C8: BF8A0000
	ds_read_b32 v40, v21                                       // 0000000045CC: D86C0000 28000015
	ds_read_b32 v41, v21 offset:64                             // 0000000045D4: D86C0040 29000015
	s_waitcnt lgkmcnt(0)                                       // 0000000045DC: BF8CC07F
	s_mov_b32 s36, -1                                          // 0000000045E0: BEA400C1
	s_mov_b32 s37, -1                                          // 0000000045E4: BEA500C1
	v_mov_b32_e32 v7, 0                                        // 0000000045E8: 7E0E0280
	s_or_b32 s9, s9, 0x40000                                   // 0000000045EC: 8709FF09 00040000
	s_mov_b64 exec, s[36:37]                                   // 0000000045F4: BEFE0124
	v_mov_b32_e32 v6, v34                                      // 0000000045F8: 7E0C0322
	s_mov_b64 s[60:61], 0                                      // 0000000045FC: BEBC0180
	v_readlane_b32 s82, v3, 0                                  // 000000004600: D2890052 00010103
	s_and_b32 s82, s82, 0xffffff                               // 000000004608: 8652FF52 00FFFFFF
	s_cmp_lt_u32 s82, s66                                      // 000000004610: BF0A4252
	s_cselect_b32 s20, s36, s60                                // 000000004614: 85143C24
	v_readlane_b32 s82, v3, 1                                  // 000000004618: D2890052 00010303
	s_and_b32 s82, s82, 0xffffff                               // 000000004620: 8652FF52 00FFFFFF
	s_cmp_lt_u32 s82, s66                                      // 000000004628: BF0A4252
	s_cselect_b32 s21, s36, s60                                // 00000000462C: 85153C24
	s_mov_b64 exec, s[20:21]                                   // 000000004630: BEFE0114
	buffer_store_dword v40, v6, s[8:11], 0 offen               // 000000004634: E0701000 80022806
	s_mov_b64 exec, s[36:37]                                   // 00000000463C: BEFE0124
	v_mov_b32_e32 v6, v35                                      // 000000004640: 7E0C0323
	s_mov_b64 s[60:61], 0                                      // 000000004644: BEBC0180
	v_readlane_b32 s82, v3, 2                                  // 000000004648: D2890052 00010503
	s_and_b32 s82, s82, 0xffffff                               // 000000004650: 8652FF52 00FFFFFF
	s_cmp_lt_u32 s82, s66                                      // 000000004658: BF0A4252
	s_cselect_b32 s20, s36, s60                                // 00000000465C: 85143C24
	v_readlane_b32 s82, v3, 3                                  // 000000004660: D2890052 00010703
	s_and_b32 s82, s82, 0xffffff                               // 000000004668: 8652FF52 00FFFFFF
	s_cmp_lt_u32 s82, s66                                      // 000000004670: BF0A4252
	s_cselect_b32 s21, s36, s60                                // 000000004674: 85153C24
	s_mov_b64 exec, s[20:21]                                   // 000000004678: BEFE0114
	buffer_store_dword v41, v6, s[8:11], 0 offen               // 00000000467C: E0701000 80022906
	s_mov_b64 exec, s[36:37]                                   // 000000004684: BEFE0124
	s_branch label_0824                                        // 000000004688: BF8200FE

000000000000468c <label_0726>:
	ds_write_b64 v20, v[40:41]                                 // 00000000468C: D89A0000 00002814
	v_lshrrev_b32_e32 v4, 5, v0                                // 000000004694: 20080085
	v_xor_b32_e32 v5, 1, v4                                    // 000000004698: 2A0A0881
	s_mul_i32 s60, s65, 2                                      // 00000000469C: 923C8241
	s_cmp_eq_u32 s88, 0                                        // 0000000046A0: BF068058
	s_cselect_b32 s61, 1, 4                                    // 0000000046A4: 853D8481
	s_mul_i32 s60, s61, s60                                    // 0000000046A8: 923C3C3D
	v_readlane_b32 s82, v3, 0                                  // 0000000046AC: D2890052 00010103
	s_lshr_b32 s61, s82, 24                                    // 0000000046B4: 8F3D9852
	s_and_b32 s82, s82, 0xffffff                               // 0000000046B8: 8652FF52 00FFFFFF
	s_mul_i32 s82, s82, s71                                    // 0000000046C0: 92524752
	s_mul_i32 s61, s60, s61                                    // 0000000046C4: 923D3D3C
	s_add_u32 s82, s82, s61                                    // 0000000046C8: 80523D52
	v_mul_lo_u32 v6, v5, s82                                   // 0000000046CC: D2850006 0000A505
	v_readlane_b32 s82, v3, 1                                  // 0000000046D4: D2890052 00010303
	s_lshr_b32 s61, s82, 24                                    // 0000000046DC: 8F3D9852
	s_and_b32 s82, s82, 0xffffff                               // 0000000046E0: 8652FF52 00FFFFFF
	s_mul_i32 s82, s82, s71                                    // 0000000046E8: 92524752
	s_mul_i32 s61, s60, s61                                    // 0000000046EC: 923D3D3C
	s_add_u32 s82, s82, s61                                    // 0000000046F0: 80523D52
	v_mul_lo_u32 v7, v4, s82                                   // 0000000046F4: D2850007 0000A504
	v_add_u32_e32 v34, v6, v7                                  // 0000000046FC: 68440F06
	v_readlane_b32 s82, v3, 2                                  // 000000004700: D2890052 00010503
	s_lshr_b32 s61, s82, 24                                    // 000000004708: 8F3D9852
	s_and_b32 s82, s82, 0xffffff                               // 00000000470C: 8652FF52 00FFFFFF
	s_mul_i32 s82, s82, s71                                    // 000000004714: 92524752
	s_mul_i32 s61, s60, s61                                    // 000000004718: 923D3D3C
	s_add_u32 s82, s82, s61                                    // 00000000471C: 80523D52
	v_mul_lo_u32 v6, v5, s82                                   // 000000004720: D2850006 0000A505
	v_readlane_b32 s82, v3, 3                                  // 000000004728: D2890052 00010703
	s_lshr_b32 s61, s82, 24                                    // 000000004730: 8F3D9852
	s_and_b32 s82, s82, 0xffffff                               // 000000004734: 8652FF52 00FFFFFF
	s_mul_i32 s82, s82, s71                                    // 00000000473C: 92524752
	s_mul_i32 s61, s60, s61                                    // 000000004740: 923D3D3C
	s_add_u32 s82, s82, s61                                    // 000000004744: 80523D52
	v_mul_lo_u32 v7, v4, s82                                   // 000000004748: D2850007 0000A504
	v_add_u32_e32 v35, v6, v7                                  // 000000004750: 68460F06
	v_and_b32_e32 v4, 31, v0                                   // 000000004754: 2608009F
	v_lshrrev_b32_e32 v4, 1, v4                                // 000000004758: 20080881
	s_cmp_eq_u32 s88, 0                                        // 00000000475C: BF068058
	s_cselect_b32 s61, 2, 4                                    // 000000004760: 853D8482
	v_mul_lo_u32 v4, v4, s61                                   // 000000004764: D2850004 00007B04
	v_and_b32_e64 v5, v0, 1                                    // 00000000476C: D1130005 00010300
	v_add_u32_e32 v4, v4, v5                                   // 000000004774: 68080B04
	v_lshlrev_b32_e32 v4, 2, v4                                // 000000004778: 24080882
	v_add_u32_e32 v34, v34, v4                                 // 00000000477C: 68440922
	v_add_u32_e32 v35, v35, v4                                 // 000000004780: 68460923
	s_waitcnt lgkmcnt(0)                                       // 000000004784: BF8CC07F
	s_barrier                                                  // 000000004788: BF8A0000
	ds_read_b32 v40, v21                                       // 00000000478C: D86C0000 28000015
	ds_read_b32 v41, v21 offset:64                             // 000000004794: D86C0040 29000015
	s_waitcnt lgkmcnt(0)                                       // 00000000479C: BF8CC07F
	s_mov_b32 s36, -1                                          // 0000000047A0: BEA400C1
	s_mov_b32 s37, -1                                          // 0000000047A4: BEA500C1
	v_mov_b32_e32 v7, 0                                        // 0000000047A8: 7E0E0280
	s_mov_b64 exec, s[36:37]                                   // 0000000047AC: BEFE0124
	v_mov_b32_e32 v6, v34                                      // 0000000047B0: 7E0C0322
	s_mov_b64 s[60:61], 0                                      // 0000000047B4: BEBC0180
	v_readlane_b32 s82, v3, 0                                  // 0000000047B8: D2890052 00010103
	s_and_b32 s82, s82, 0xffffff                               // 0000000047C0: 8652FF52 00FFFFFF
	s_cmp_lt_u32 s82, s66                                      // 0000000047C8: BF0A4252
	s_cselect_b32 s20, s36, s60                                // 0000000047CC: 85143C24
	v_readlane_b32 s82, v3, 1                                  // 0000000047D0: D2890052 00010303
	s_and_b32 s82, s82, 0xffffff                               // 0000000047D8: 8652FF52 00FFFFFF
	s_cmp_lt_u32 s82, s66                                      // 0000000047E0: BF0A4252
	s_cselect_b32 s21, s36, s60                                // 0000000047E4: 85153C24
	s_mov_b64 exec, s[20:21]                                   // 0000000047E8: BEFE0114
	global_atomic_add_f32 v6, v40, s[8:9]                      // 0000000047EC: DD348000 00082806
	s_mov_b64 exec, s[36:37]                                   // 0000000047F4: BEFE0124
	v_mov_b32_e32 v6, v35                                      // 0000000047F8: 7E0C0323
	s_mov_b64 s[60:61], 0                                      // 0000000047FC: BEBC0180
	v_readlane_b32 s82, v3, 2                                  // 000000004800: D2890052 00010503
	s_and_b32 s82, s82, 0xffffff                               // 000000004808: 8652FF52 00FFFFFF
	s_cmp_lt_u32 s82, s66                                      // 000000004810: BF0A4252
	s_cselect_b32 s20, s36, s60                                // 000000004814: 85143C24
	v_readlane_b32 s82, v3, 3                                  // 000000004818: D2890052 00010703
	s_and_b32 s82, s82, 0xffffff                               // 000000004820: 8652FF52 00FFFFFF
	s_cmp_lt_u32 s82, s66                                      // 000000004828: BF0A4252
	s_cselect_b32 s21, s36, s60                                // 00000000482C: 85153C24
	s_mov_b64 exec, s[20:21]                                   // 000000004830: BEFE0114
	global_atomic_add_f32 v6, v41, s[8:9]                      // 000000004834: DD348000 00082906
	s_mov_b64 exec, s[36:37]                                   // 00000000483C: BEFE0124
	ds_write_b64 v20, v[42:43]                                 // 000000004840: D89A0000 00002A14
	s_waitcnt lgkmcnt(0)                                       // 000000004848: BF8CC07F
	s_barrier                                                  // 00000000484C: BF8A0000
	ds_read_b32 v42, v21                                       // 000000004850: D86C0000 2A000015
	ds_read_b32 v43, v21 offset:64                             // 000000004858: D86C0040 2B000015
	s_waitcnt lgkmcnt(0)                                       // 000000004860: BF8CC07F
	v_mov_b32_e32 v7, 0                                        // 000000004864: 7E0E0280
	s_mov_b64 exec, s[36:37]                                   // 000000004868: BEFE0124
	v_mov_b32_e32 v6, v34                                      // 00000000486C: 7E0C0322
	s_mov_b64 s[60:61], 0                                      // 000000004870: BEBC0180
	v_readlane_b32 s82, v3, 0                                  // 000000004874: D2890052 00010103
	s_and_b32 s82, s82, 0xffffff                               // 00000000487C: 8652FF52 00FFFFFF
	s_cmp_lt_u32 s82, s66                                      // 000000004884: BF0A4252
	s_cselect_b32 s20, s36, s60                                // 000000004888: 85143C24
	v_readlane_b32 s82, v3, 1                                  // 00000000488C: D2890052 00010303
	s_and_b32 s82, s82, 0xffffff                               // 000000004894: 8652FF52 00FFFFFF
	s_cmp_lt_u32 s82, s66                                      // 00000000489C: BF0A4252
	s_cselect_b32 s21, s36, s60                                // 0000000048A0: 85153C24
	s_mov_b64 exec, s[20:21]                                   // 0000000048A4: BEFE0114
	global_atomic_add_f32 v6, v42, s[8:9] offset:8             // 0000000048A8: DD348008 00082A06
	s_mov_b64 exec, s[36:37]                                   // 0000000048B0: BEFE0124
	v_mov_b32_e32 v6, v35                                      // 0000000048B4: 7E0C0323
	s_mov_b64 s[60:61], 0                                      // 0000000048B8: BEBC0180
	v_readlane_b32 s82, v3, 2                                  // 0000000048BC: D2890052 00010503
	s_and_b32 s82, s82, 0xffffff                               // 0000000048C4: 8652FF52 00FFFFFF
	s_cmp_lt_u32 s82, s66                                      // 0000000048CC: BF0A4252
	s_cselect_b32 s20, s36, s60                                // 0000000048D0: 85143C24
	v_readlane_b32 s82, v3, 3                                  // 0000000048D4: D2890052 00010703
	s_and_b32 s82, s82, 0xffffff                               // 0000000048DC: 8652FF52 00FFFFFF
	s_cmp_lt_u32 s82, s66                                      // 0000000048E4: BF0A4252
	s_cselect_b32 s21, s36, s60                                // 0000000048E8: 85153C24
	s_mov_b64 exec, s[20:21]                                   // 0000000048EC: BEFE0114
	global_atomic_add_f32 v6, v43, s[8:9] offset:8             // 0000000048F0: DD348008 00082B06
	s_mov_b64 exec, s[36:37]                                   // 0000000048F8: BEFE0124
	ds_write_b64 v20, v[44:45]                                 // 0000000048FC: D89A0000 00002C14
	s_waitcnt lgkmcnt(0)                                       // 000000004904: BF8CC07F
	s_barrier                                                  // 000000004908: BF8A0000
	ds_read_b32 v44, v21                                       // 00000000490C: D86C0000 2C000015
	ds_read_b32 v45, v21 offset:64                             // 000000004914: D86C0040 2D000015
	s_mul_i32 s60, s65, 4                                      // 00000000491C: 923C8441
	s_add_u32 s8, s60, s8                                      // 000000004920: 8008083C
	s_addc_u32 s9, 0, s9                                       // 000000004924: 82090980
	s_waitcnt lgkmcnt(0)                                       // 000000004928: BF8CC07F
	v_mov_b32_e32 v7, 0                                        // 00000000492C: 7E0E0280
	s_mov_b64 exec, s[36:37]                                   // 000000004930: BEFE0124
	v_mov_b32_e32 v6, v34                                      // 000000004934: 7E0C0322
	s_mov_b64 s[60:61], 0                                      // 000000004938: BEBC0180
	v_readlane_b32 s82, v3, 0                                  // 00000000493C: D2890052 00010103
	s_and_b32 s82, s82, 0xffffff                               // 000000004944: 8652FF52 00FFFFFF
	s_cmp_lt_u32 s82, s66                                      // 00000000494C: BF0A4252
	s_cselect_b32 s20, s36, s60                                // 000000004950: 85143C24
	v_readlane_b32 s82, v3, 1                                  // 000000004954: D2890052 00010303
	s_and_b32 s82, s82, 0xffffff                               // 00000000495C: 8652FF52 00FFFFFF
	s_cmp_lt_u32 s82, s66                                      // 000000004964: BF0A4252
	s_cselect_b32 s21, s36, s60                                // 000000004968: 85153C24
	s_mov_b64 exec, s[20:21]                                   // 00000000496C: BEFE0114
	global_atomic_add_f32 v6, v44, s[8:9]                      // 000000004970: DD348000 00082C06
	s_mov_b64 exec, s[36:37]                                   // 000000004978: BEFE0124
	v_mov_b32_e32 v6, v35                                      // 00000000497C: 7E0C0323
	s_mov_b64 s[60:61], 0                                      // 000000004980: BEBC0180
	v_readlane_b32 s82, v3, 2                                  // 000000004984: D2890052 00010503
	s_and_b32 s82, s82, 0xffffff                               // 00000000498C: 8652FF52 00FFFFFF
	s_cmp_lt_u32 s82, s66                                      // 000000004994: BF0A4252
	s_cselect_b32 s20, s36, s60                                // 000000004998: 85143C24
	v_readlane_b32 s82, v3, 3                                  // 00000000499C: D2890052 00010703
	s_and_b32 s82, s82, 0xffffff                               // 0000000049A4: 8652FF52 00FFFFFF
	s_cmp_lt_u32 s82, s66                                      // 0000000049AC: BF0A4252
	s_cselect_b32 s21, s36, s60                                // 0000000049B0: 85153C24
	s_mov_b64 exec, s[20:21]                                   // 0000000049B4: BEFE0114
	global_atomic_add_f32 v6, v45, s[8:9]                      // 0000000049B8: DD348000 00082D06
	s_mov_b64 exec, s[36:37]                                   // 0000000049C0: BEFE0124
	ds_write_b64 v20, v[46:47]                                 // 0000000049C4: D89A0000 00002E14
	s_waitcnt lgkmcnt(0)                                       // 0000000049CC: BF8CC07F
	s_barrier                                                  // 0000000049D0: BF8A0000
	ds_read_b32 v46, v21                                       // 0000000049D4: D86C0000 2E000015
	ds_read_b32 v47, v21 offset:64                             // 0000000049DC: D86C0040 2F000015
	s_waitcnt lgkmcnt(0)                                       // 0000000049E4: BF8CC07F
	v_mov_b32_e32 v7, 0                                        // 0000000049E8: 7E0E0280
	s_mov_b64 exec, s[36:37]                                   // 0000000049EC: BEFE0124
	v_mov_b32_e32 v6, v34                                      // 0000000049F0: 7E0C0322
	s_mov_b64 s[60:61], 0                                      // 0000000049F4: BEBC0180
	v_readlane_b32 s82, v3, 0                                  // 0000000049F8: D2890052 00010103
	s_and_b32 s82, s82, 0xffffff                               // 000000004A00: 8652FF52 00FFFFFF
	s_cmp_lt_u32 s82, s66                                      // 000000004A08: BF0A4252
	s_cselect_b32 s20, s36, s60                                // 000000004A0C: 85143C24
	v_readlane_b32 s82, v3, 1                                  // 000000004A10: D2890052 00010303
	s_and_b32 s82, s82, 0xffffff                               // 000000004A18: 8652FF52 00FFFFFF
	s_cmp_lt_u32 s82, s66                                      // 000000004A20: BF0A4252
	s_cselect_b32 s21, s36, s60                                // 000000004A24: 85153C24
	s_mov_b64 exec, s[20:21]                                   // 000000004A28: BEFE0114
	global_atomic_add_f32 v6, v46, s[8:9] offset:8             // 000000004A2C: DD348008 00082E06
	s_mov_b64 exec, s[36:37]                                   // 000000004A34: BEFE0124
	v_mov_b32_e32 v6, v35                                      // 000000004A38: 7E0C0323
	s_mov_b64 s[60:61], 0                                      // 000000004A3C: BEBC0180
	v_readlane_b32 s82, v3, 2                                  // 000000004A40: D2890052 00010503
	s_and_b32 s82, s82, 0xffffff                               // 000000004A48: 8652FF52 00FFFFFF
	s_cmp_lt_u32 s82, s66                                      // 000000004A50: BF0A4252
	s_cselect_b32 s20, s36, s60                                // 000000004A54: 85143C24
	v_readlane_b32 s82, v3, 3                                  // 000000004A58: D2890052 00010703
	s_and_b32 s82, s82, 0xffffff                               // 000000004A60: 8652FF52 00FFFFFF
	s_cmp_lt_u32 s82, s66                                      // 000000004A68: BF0A4252
	s_cselect_b32 s21, s36, s60                                // 000000004A6C: 85153C24
	s_mov_b64 exec, s[20:21]                                   // 000000004A70: BEFE0114
	global_atomic_add_f32 v6, v47, s[8:9] offset:8             // 000000004A74: DD348008 00082F06
	s_mov_b64 exec, s[36:37]                                   // 000000004A7C: BEFE0124
	s_branch label_0824                                        // 000000004A80: BF820000

0000000000004a84 <label_0824>:
	s_waitcnt vmcnt(0) expcnt(0) lgkmcnt(0)                    // 000000004A84: BF8C0000
	s_endpgm                                                   // 000000004A88: BF810000
